;; amdgpu-corpus repo=ROCm/aiter kind=harvested arch=n/a opt=n/a

/root/src/amdgpu-assembly/repos/ROCm__aiter/hsa/gfx950/pa/pa_bf16_pertokenFp8_gqa8_2tg_4w_uhp.co:	file format elf64-amdgpu

Disassembly of section .text:

0000000000002100 <_ZN5aiter35pa_bf16_pertokenFp8_gqa8_2tg_4w_uhpE>:
	s_and_b32 s1, s1, 0xffff                                   // 000000002100: 8601FF01 0000FFFF
	s_load_dwordx2 s[8:9], s[0:1], 0x0                         // 000000002108: C0060200 00000000
	s_load_dwordx2 s[12:13], s[0:1], 0x10                      // 000000002110: C0060300 00000010
	s_load_dwordx2 s[16:17], s[0:1], 0x20                      // 000000002118: C0060400 00000020
	s_load_dwordx2 s[20:21], s[0:1], 0x30                      // 000000002120: C0060500 00000030
	s_load_dwordx2 s[24:25], s[0:1], 0x40                      // 000000002128: C0060600 00000040
	s_load_dwordx2 s[28:29], s[0:1], 0x50                      // 000000002130: C0060700 00000050
	s_load_dwordx2 s[32:33], s[0:1], 0x60                      // 000000002138: C0060800 00000060
	s_load_dwordx2 s[36:37], s[0:1], 0x70                      // 000000002140: C0060900 00000070
	s_load_dword s64, s[0:1], 0x80                             // 000000002148: C0021000 00000080
	s_load_dword s65, s[0:1], 0x90                             // 000000002150: C0021040 00000090
	s_load_dword s66, s[0:1], 0xa0                             // 000000002158: C0021080 000000A0
	s_load_dword s74, s[0:1], 0xb0                             // 000000002160: C0021280 000000B0
	s_load_dword s68, s[0:1], 0xc0                             // 000000002168: C0021100 000000C0
	s_load_dword s69, s[0:1], 0xd0                             // 000000002170: C0021140 000000D0
	s_load_dword s77, s[0:1], 0xe0                             // 000000002178: C0021340 000000E0
	v_lshrrev_b32_e32 v1, 10, v0                               // 000000002180: 2002008A
	v_lshrrev_b32_e32 v2, 10, v1                               // 000000002184: 2004028A
	v_and_b32_e32 v2, 0x3ff, v2                                // 000000002188: 260404FF 000003FF
	v_and_b32_e32 v1, 0x3ff, v1                                // 000000002190: 260202FF 000003FF
	v_and_b32_e32 v0, 0x3ff, v0                                // 000000002198: 260000FF 000003FF
	v_lshrrev_b32_e32 v3, 6, v0                                // 0000000021A0: 20060086
	v_and_b32_e32 v0, 63, v0                                   // 0000000021A4: 260000BF
	s_mov_b32 s2, s2                                           // 0000000021A8: BE820002
	s_mov_b32 s3, s3                                           // 0000000021AC: BE830003
	s_mov_b32 s4, s4                                           // 0000000021B0: BE840004
	v_readfirstlane_b32 s7, v3                                 // 0000000021B4: 7E0E0503
	s_waitcnt lgkmcnt(0)                                       // 0000000021B8: BF8CC07F
	s_mul_i32 s67, 0x100, s77                                  // 0000000021BC: 92434DFF 00000100
	s_mul_i32 s76, 0x100, s77                                  // 0000000021C4: 924C4DFF 00000100
	s_mul_i32 s75, s66, s76                                    // 0000000021CC: 924B4C42
	s_mul_i32 s60, s3, 4                                       // 0000000021D0: 923C8403
	s_and_b32 s29, s29, 0xffff                                 // 0000000021D4: 861DFF1D 0000FFFF
	s_add_u32 s28, s60, s28                                    // 0000000021DC: 801C1C3C
	s_addc_u32 s29, 0, s29                                     // 0000000021E0: 821D1D80
	s_load_dword s72, s[28:29], 0x0                            // 0000000021E4: C002120E 00000000
	s_mov_b32 s10, s76                                         // 0000000021EC: BE8A004C
	s_mov_b32 s14, s67                                         // 0000000021F0: BE8E0043
	s_mul_i32 s60, 4, s65                                      // 0000000021F4: 923C4184
	s_mov_b32 s26, s60                                         // 0000000021F8: BE9A003C
	s_mov_b32 s34, 0x80000000                                  // 0000000021FC: BEA200FF 80000000
	s_mov_b32 s38, 0x80000000                                  // 000000002204: BEA600FF 80000000
	s_mov_b32 s18, 0x80000000                                  // 00000000220C: BE9200FF 80000000
	s_mov_b32 s22, 0x80000000                                  // 000000002214: BE9600FF 80000000
	s_mov_b32 s11, 0x20000                                     // 00000000221C: BE8B00FF 00020000
	s_mov_b32 s15, 0x20000                                     // 000000002224: BE8F00FF 00020000
	s_mov_b32 s19, 0x20000                                     // 00000000222C: BE9300FF 00020000
	s_mov_b32 s23, 0x20000                                     // 000000002234: BE9700FF 00020000
	s_mov_b32 s27, 0x20000                                     // 00000000223C: BE9B00FF 00020000
	s_mov_b32 s35, 0x20000                                     // 000000002244: BEA300FF 00020000
	s_mov_b32 s39, 0x20000                                     // 00000000224C: BEA700FF 00020000
	s_and_b32 s9, s9, 0xffff                                   // 000000002254: 8609FF09 0000FFFF
	s_and_b32 s13, s13, 0xffff                                 // 00000000225C: 860DFF0D 0000FFFF
	s_and_b32 s17, s17, 0xffff                                 // 000000002264: 8611FF11 0000FFFF
	s_and_b32 s21, s21, 0xffff                                 // 00000000226C: 8615FF15 0000FFFF
	s_and_b32 s25, s25, 0xffff                                 // 000000002274: 8619FF19 0000FFFF
	s_and_b32 s33, s33, 0xffff                                 // 00000000227C: 8621FF21 0000FFFF
	s_and_b32 s37, s37, 0xffff                                 // 000000002284: 8625FF25 0000FFFF
	s_or_b32 s9, s9, 0x40000                                   // 00000000228C: 8709FF09 00040000
	s_or_b32 s13, s13, 0x40000                                 // 000000002294: 870DFF0D 00040000
	s_or_b32 s17, s17, 0x40000                                 // 00000000229C: 8711FF11 00040000
	s_or_b32 s21, s21, 0x40000                                 // 0000000022A4: 8715FF15 00040000
	s_or_b32 s25, s25, 0x40000                                 // 0000000022AC: 8719FF19 00040000
	s_or_b32 s33, s33, 0x40000                                 // 0000000022B4: 8721FF21 00040000
	s_or_b32 s37, s37, 0x40000                                 // 0000000022BC: 8725FF25 00040000
	v_mov_b32_e32 v255, 0                                      // 0000000022C4: 7FFE0280
	s_mul_i32 s60, s3, s65                                     // 0000000022C8: 923C4103
	s_mul_i32 s60, s60, 4                                      // 0000000022CC: 923C843C
	s_add_u32 s24, s60, s24                                    // 0000000022D0: 8018183C
	s_addc_u32 s25, 0, s25                                     // 0000000022D4: 82191980
	s_mov_b32 s56, 64                                          // 0000000022D8: BEB800C0
	s_waitcnt lgkmcnt(0)                                       // 0000000022DC: BF8CC07F
	s_add_u32 s73, s72, 15                                     // 0000000022E0: 80498F48
	s_lshr_b32 s73, s73, 4                                     // 0000000022E4: 8F498449
	s_mul_i32 s60, s73, 4                                      // 0000000022E8: 923C8449
	s_mov_b32 s26, s60                                         // 0000000022EC: BE9A003C
	v_and_b32_e32 v39, 3, v0                                   // 0000000022F0: 264E0083
	v_cmp_eq_u32_e64 s[60:61], 0, v39                          // 0000000022F4: D0CA003C 00024E80
	v_and_b32_e32 v38, 12, v0                                  // 0000000022FC: 264C008C
	v_add_u32_e32 v1, s7, v38                                  // 000000002300: 68024C07
	v_cndmask_b32_e64 v1, 0, v1, s[60:61]                      // 000000002304: D1000001 00F20280
	v_and_b32_e32 v39, 3, v0                                   // 00000000230C: 264E0083
	v_cmp_eq_u32_e64 s[60:61], 1, v39                          // 000000002310: D0CA003C 00024E81
	v_lshrrev_b32_e32 v38, 4, v0                               // 000000002318: 204C0084
	v_and_b32_e32 v39, 12, v0                                  // 00000000231C: 264E008C
	v_add_u32_e32 v38, v39, v38                                // 000000002320: 684C4D27
	v_cndmask_b32_e64 v38, 0, v38, s[60:61]                    // 000000002324: D1000026 00F24C80
	v_add_u32_e32 v1, v1, v38                                  // 00000000232C: 68024D01
	v_lshlrev_b32_e32 v1, 2, v1                                // 000000002330: 24020282
	buffer_load_dword v16, v1, s[24:27], 0 offen               // 000000002334: E0501000 80061001
	v_add_u32_e32 v1, s56, v1                                  // 00000000233C: 68020238
	buffer_load_dword v17, v1, s[24:27], 0 offen               // 000000002340: E0501000 80061101
	s_cmp_le_u32 s73, 32                                       // 000000002348: BF0BA049
	s_cselect_b32 s56, 0, s56                                  // 00000000234C: 85383880
	s_mul_i32 s60, s2, s67                                     // 000000002350: 923C4302
	s_mul_i32 s61, s3, s74                                     // 000000002354: 923D4A03
	s_add_u32 s60, s60, s61                                    // 000000002358: 803C3D3C
	s_add_u32 s12, s60, s12                                    // 00000000235C: 800C0C3C
	s_addc_u32 s13, 0, s13                                     // 000000002360: 820D0D80
	s_mul_i32 s60, s7, 0x108                                   // 000000002364: 923CFF07 00000108
	s_add_u32 m0, 0, s60                                       // 00000000236C: 807C3C80
	s_mul_i32 s60, s7, 0x100                                   // 000000002370: 923CFF07 00000100
	v_lshlrev_b32_e32 v38, 2, v0                               // 000000002378: 244C0082
	v_add_u32_e64 v38, v38, s60                                // 00000000237C: D1340026 00007926
	buffer_load_dword v38, s[12:15], 0 offen lds               // 000000002384: E0511000 80030026
	s_mul_i32 s60, 4, 0x108                                    // 00000000238C: 923CFF84 00000108
	s_add_u32 m0, m0, s60                                      // 000000002394: 807C3C7C
	v_add_u32_e32 v38, 0x400, v38                              // 000000002398: 684C4CFF 00000400
	buffer_load_dword v38, s[12:15], 0 offen lds               // 0000000023A0: E0511000 80030026
	s_mul_i32 s60, 4, 0x108                                    // 0000000023A8: 923CFF84 00000108
	s_add_u32 m0, m0, s60                                      // 0000000023B0: 807C3C7C
	v_add_u32_e32 v38, 0x400, v38                              // 0000000023B4: 684C4CFF 00000400
	s_mul_i32 s60, s7, 0x108                                   // 0000000023BC: 923CFF07 00000108
	v_lshlrev_b32_e32 v38, 2, v0                               // 0000000023C4: 244C0082
	v_add_u32_e64 v38, v38, s60                                // 0000000023C8: D1340026 00007926
	v_mov_b32_e32 v39, 0                                       // 0000000023D0: 7E4E0280
	ds_write_b32 v38, v39 offset:2112                          // 0000000023D4: D81A0840 00002726
	ds_write_b32 v38, v39 offset:3168                          // 0000000023DC: D81A0C60 00002726
	v_lshrrev_b32_e32 v38, 4, v0                               // 0000000023E4: 204C0084
	v_lshlrev_b32_e32 v38, 2, v38                              // 0000000023E8: 244C4C82
	v_and_b32_e32 v39, 3, v0                                   // 0000000023EC: 264E0083
	v_add_u32_e32 v38, v39, v38                                // 0000000023F0: 684C4D27
	v_lshlrev_b32_e32 v57, 2, v38                              // 0000000023F4: 24724C82
	v_mov_b32_e32 v58, v57                                     // 0000000023F8: 7E740339
	s_mul_i32 s60, s2, 64                                      // 0000000023FC: 923CC002
	s_add_u32 s32, s60, s32                                    // 000000002400: 8020203C
	s_addc_u32 s33, 0, s33                                     // 000000002404: 82212180
	s_add_u32 s36, s60, s36                                    // 000000002408: 8024243C
	s_addc_u32 s37, 0, s37                                     // 00000000240C: 82252580
	s_mul_i32 s60, s2, s76                                     // 000000002410: 923C4C02
	s_mul_i32 s61, s3, s75                                     // 000000002414: 923D4B03
	s_add_u32 s60, s60, s61                                    // 000000002418: 803C3D3C
	s_add_u32 s8, s60, s8                                      // 00000000241C: 8008083C
	s_addc_u32 s9, 0, s9                                       // 000000002420: 82090980
	s_mul_i32 s60, s7, 0x100                                   // 000000002424: 923CFF07 00000100
	v_lshlrev_b32_e32 v8, 2, v0                                // 00000000242C: 24100082
	v_add_u32_e64 v8, v8, s60                                  // 000000002430: D1340008 00007908
	s_mov_b32 s70, 0                                           // 000000002438: BEC60080
	s_and_b32 s71, s72, 0xffffff00                             // 00000000243C: 8647FF48 FFFFFF00
	s_mov_b32 s42, 0xff00ff00                                  // 000000002444: BEAA00FF FF00FF00
	s_mov_b32 s43, 0xff00ff00                                  // 00000000244C: BEAB00FF FF00FF00
	s_mov_b32 s44, 0xf0f0f0f0                                  // 000000002454: BEAC00FF F0F0F0F0
	s_mov_b32 s45, 0xf0f0f0f0                                  // 00000000245C: BEAD00FF F0F0F0F0
	v_mul_i32_i24_e64 v61, 64, s66                             // 000000002464: D106003D 000084C0
	v_mov_b32_e32 v51, s68                                     // 00000000246C: 7E660244
	v_mov_b32_e32 v9, -1                                       // 000000002470: 7E1202C1
	s_mov_b32 s52, 0x7060302                                   // 000000002474: BEB400FF 07060302
	s_mov_b32 s53, 0x400                                       // 00000000247C: BEB500FF 00000400
	s_mov_b32 s54, 0x40100                                     // 000000002484: BEB600FF 00040100
	s_mov_b32 s55, 0x4020100                                   // 00000000248C: BEB700FF 04020100
	v_mov_b32_dpp v9, v9 row_shl:8 row_mask:0xf bank_mask:0xf bound_ctrl:1// 000000002494: 7E1202FA FF090809
	s_mov_b32 s6, 0x3fb8aa3b                                   // 00000000249C: BE8600FF 3FB8AA3B
	v_mov_b32_e32 v14, 0xff800000                              // 0000000024A4: 7E1C02FF FF800000
	v_mov_b32_e32 v52, 0xff800000                              // 0000000024AC: 7E6802FF FF800000
	v_mov_b32_e32 v49, 0                                       // 0000000024B4: 7E620280
	v_mov_b32_e32 v42, 0                                       // 0000000024B8: 7E540280
	v_mov_b32_e32 v47, 0                                       // 0000000024BC: 7E5E0280
	v_mov_b32_e32 v19, 0xffff0000                              // 0000000024C0: 7E2602FF FFFF0000
	v_mov_b32_e32 v20, 0x7fff0000                              // 0000000024C8: 7E2802FF 7FFF0000
	v_mov_b32_e32 v21, 0x7fff                                  // 0000000024D0: 7E2A02FF 00007FFF
	v_add_u32_e32 v1, s56, v1                                  // 0000000024D8: 68020238
	v_and_b32_e32 v10, 15, v0                                  // 0000000024DC: 2614008F
	v_lshlrev_b32_e32 v10, 2, v10                              // 0000000024E0: 24141482
	v_lshlrev_b32_e32 v11, 2, v0                               // 0000000024E4: 24160082
	s_mul_i32 s60, 0x100, s7                                   // 0000000024E8: 923C07FF 00000100
	v_add_u32_e32 v11, s60, v11                                // 0000000024F0: 6816163C
	v_lshrrev_b32_e32 v38, 4, v0                               // 0000000024F4: 204C0084
	v_lshlrev_b32_e32 v39, 6, v38                              // 0000000024F8: 244E4C86
	v_and_b32_e32 v38, 15, v0                                  // 0000000024FC: 264C008F
	v_lshlrev_b32_e32 v38, 1, v38                              // 000000002500: 244C4C81
	v_add_u32_e32 v39, v38, v39                                // 000000002504: 684E4F26
	v_lshlrev_b32_e32 v12, 2, v39                              // 000000002508: 24184E82
	v_lshrrev_b32_e32 v38, 5, v0                               // 00000000250C: 204C0085
	v_lshlrev_b32_e32 v39, 5, v38                              // 000000002510: 244E4C85
	v_and_b32_e32 v38, 31, v0                                  // 000000002514: 264C009F
	v_lshrrev_b32_e32 v40, 4, v38                              // 000000002518: 20504C84
	v_add_u32_e32 v39, v40, v39                                // 00000000251C: 684E4F28
	v_and_b32_e32 v38, 15, v0                                  // 000000002520: 264C008F
	v_lshlrev_b32_e32 v38, 1, v38                              // 000000002524: 244C4C81
	v_add_u32_e32 v39, v38, v39                                // 000000002528: 684E4F26
	v_lshlrev_b32_e32 v38, 2, v39                              // 00000000252C: 244C4E82
	s_mul_i32 s60, 0x100, s7                                   // 000000002530: 923C07FF 00000100
	v_add_u32_e64 v13, v38, s60                                // 000000002538: D134000D 00007926
	v_lshlrev_b32_e32 v6, 4, v0                                // 000000002540: 240C0084
	s_mul_i32 s60, s2, s69                                     // 000000002544: 923C4502
	s_add_u32 s16, s60, s16                                    // 000000002548: 8010103C
	s_addc_u32 s17, 0, s17                                     // 00000000254C: 82111180
	v_and_b32_e32 v38, 15, v0                                  // 000000002550: 264C008F
	v_lshlrev_b32_e32 v7, 4, v38                               // 000000002554: 240E4C84
	s_mul_i32 s61, s2, s69                                     // 000000002558: 923D4502
	s_mul_i32 s60, s7, 0x100                                   // 00000000255C: 923CFF07 00000100
	s_add_u32 s60, s60, s61                                    // 000000002564: 803C3D3C
	s_add_u32 s20, s60, s20                                    // 000000002568: 8014143C
	s_addc_u32 s21, 0, s21                                     // 00000000256C: 82151580
	s_waitcnt vmcnt(2)                                         // 000000002570: BF8C0F72
	v_mul_u32_u24_dpp v38, v16, v51 row_newbcast:0 row_mask:0xf bank_mask:0xf// 000000002574: 104C66FA FF015010
	v_mul_u32_u24_dpp v39, v16, v51 row_newbcast:4 row_mask:0xf bank_mask:0xf// 00000000257C: 104E66FA FF015410
	v_mul_u32_u24_dpp v40, v16, v51 row_newbcast:8 row_mask:0xf bank_mask:0xf// 000000002584: 105066FA FF015810
	v_mul_u32_u24_dpp v41, v16, v51 row_newbcast:12 row_mask:0xf bank_mask:0xf// 00000000258C: 105266FA FF015C10
	v_add_u32_e32 v22, v38, v6                                 // 000000002594: 682C0D26
	v_add_u32_e32 v23, v39, v6                                 // 000000002598: 682E0D27
	v_add_u32_e32 v24, v40, v6                                 // 00000000259C: 68300D28
	v_add_u32_e32 v25, v41, v6                                 // 0000000025A0: 68320D29
	v_mul_u32_u24_dpp v38, v16, v51 row_newbcast:1 row_mask:0xf bank_mask:0xf// 0000000025A4: 104C66FA FF015110
	v_mul_u32_u24_dpp v39, v16, v51 row_newbcast:5 row_mask:0xf bank_mask:0xf// 0000000025AC: 104E66FA FF015510
	v_mul_u32_u24_dpp v40, v16, v51 row_newbcast:9 row_mask:0xf bank_mask:0xf// 0000000025B4: 105066FA FF015910
	v_mul_u32_u24_dpp v41, v16, v51 row_newbcast:13 row_mask:0xf bank_mask:0xf// 0000000025BC: 105266FA FF015D10
	v_add_u32_e32 v30, v38, v7                                 // 0000000025C4: 683C0F26
	v_add_u32_e32 v31, v39, v7                                 // 0000000025C8: 683E0F27
	v_add_u32_e32 v32, v40, v7                                 // 0000000025CC: 68400F28
	v_add_u32_e32 v33, v41, v7                                 // 0000000025D0: 68420F29
	v_mul_u32_u24_dpp v38, v16, v61 quad_perm:[0,0,0,0] row_mask:0xf bank_mask:0xf// 0000000025D4: 104C7AFA FF000010
	v_add_u32_e32 v2, v38, v57                                 // 0000000025DC: 68047326
	v_mul_u32_u24_dpp v38, v16, v61 quad_perm:[0,0,0,0] row_mask:0xf bank_mask:0xf// 0000000025E0: 104C7AFA FF000010
	v_add_u32_e32 v53, v38, v58                                // 0000000025E8: 686A7526
	buffer_load_dword v44, v2, s[32:35], 0 offen               // 0000000025EC: E0501000 80082C02
	buffer_load_dwordx4 v[128:131], v22, s[16:19], 0 offen     // 0000000025F4: E05C1000 80048016
	buffer_load_dwordx4 v[132:135], v22, s[16:19], 0 offen offset:1024// 0000000025FC: E05C1400 80048416
	buffer_load_dwordx4 v[136:139], v23, s[16:19], 0 offen     // 000000002604: E05C1000 80048817
	buffer_load_dwordx4 v[140:143], v23, s[16:19], 0 offen offset:1024// 00000000260C: E05C1400 80048C17
	buffer_load_dwordx4 v[144:147], v24, s[16:19], 0 offen     // 000000002614: E05C1000 80049018
	buffer_load_dwordx4 v[148:151], v24, s[16:19], 0 offen offset:1024// 00000000261C: E05C1400 80049418
	buffer_load_dwordx4 v[152:155], v25, s[16:19], 0 offen     // 000000002624: E05C1000 80049819
	buffer_load_dwordx4 v[156:159], v25, s[16:19], 0 offen offset:1024// 00000000262C: E05C1400 80049C19
	buffer_load_dword v55, v53, s[36:39], 0 offen              // 000000002634: E0501000 80093735
	buffer_load_dwordx4 v[192:195], v30, s[20:23], 0 offen     // 00000000263C: E05C1000 8005C01E
	buffer_load_dwordx4 v[196:199], v31, s[20:23], 0 offen     // 000000002644: E05C1000 8005C41F
	buffer_load_dwordx4 v[200:203], v32, s[20:23], 0 offen     // 00000000264C: E05C1000 8005C820
	buffer_load_dwordx4 v[204:207], v33, s[20:23], 0 offen     // 000000002654: E05C1000 8005CC21
	buffer_load_dwordx4 v[208:211], v30, s[20:23], 0 offen offset:1024// 00000000265C: E05C1400 8005D01E
	buffer_load_dwordx4 v[212:215], v31, s[20:23], 0 offen offset:1024// 000000002664: E05C1400 8005D41F
	buffer_load_dwordx4 v[216:219], v32, s[20:23], 0 offen offset:1024// 00000000266C: E05C1400 8005D820
	buffer_load_dwordx4 v[220:223], v33, s[20:23], 0 offen offset:1024// 000000002674: E05C1400 8005DC21
	v_lshrrev_b32_e32 v38, 4, v0                               // 00000000267C: 204C0084
	v_lshlrev_b32_e32 v39, 1, v38                              // 000000002680: 244E4C81
	v_and_b32_e32 v38, 15, v0                                  // 000000002684: 264C008F
	v_mul_i32_i24_e32 v38, 0x42, v38                           // 000000002688: 0C4C4CFF 00000042
	v_add_u32_e32 v39, v38, v39                                // 000000002690: 684E4F26
	v_lshlrev_b32_e32 v4, 2, v39                               // 000000002694: 24084E82
	s_mul_i32 s60, s7, 32                                      // 000000002698: 923CA007
	v_add_u32_e32 v4, s60, v4                                  // 00000000269C: 6808083C
	s_waitcnt vmcnt(16) lgkmcnt(0)                             // 0000000026A0: BF8C4070
	s_barrier                                                  // 0000000026A4: BF8A0000
	ds_read_b64 v[80:81], v4                                   // 0000000026A8: D8EC0000 50000004
	ds_read_b64 v[84:85], v4 offset:128                        // 0000000026B0: D8EC0080 54000004
	s_waitcnt lgkmcnt(0)                                       // 0000000026B8: BF8CC07F
	v_and_b32_e32 v83, 0xffff0000, v81                         // 0000000026BC: 26A6A2FF FFFF0000
	v_lshlrev_b32_e32 v82, 16, v81                             // 0000000026C4: 24A4A290
	v_and_b32_e32 v81, 0xffff0000, v80                         // 0000000026C8: 26A2A0FF FFFF0000
	v_lshlrev_b32_e32 v80, 16, v80                             // 0000000026D0: 24A0A090
	v_and_b32_e32 v87, 0xffff0000, v85                         // 0000000026D4: 26AEAAFF FFFF0000
	v_lshlrev_b32_e32 v86, 16, v85                             // 0000000026DC: 24ACAA90
	v_and_b32_e32 v85, 0xffff0000, v84                         // 0000000026E0: 26AAA8FF FFFF0000
	v_lshlrev_b32_e32 v84, 16, v84                             // 0000000026E8: 24A8A890
	v_mov_b32_e32 v48, 0x358637bd                              // 0000000026EC: 7E6002FF 358637BD
	v_max3_f32 v48, |v80|, |v81|, v48                          // 0000000026F4: D1D30330 04C2A350
	v_max3_f32 v48, |v82|, |v83|, v48                          // 0000000026FC: D1D30330 04C2A752
	v_max3_f32 v48, |v84|, |v85|, v48                          // 000000002704: D1D30330 04C2AB54
	v_max3_f32 v48, |v86|, |v87|, v48                          // 00000000270C: D1D30330 04C2AF56
	ds_write_b32 v11, v48 offset:4224                          // 000000002714: D81A1080 0000300B
	s_waitcnt lgkmcnt(0)                                       // 00000000271C: BF8CC07F
	s_barrier                                                  // 000000002720: BF8A0000
	ds_read_b32 v64, v10 offset:4224                           // 000000002724: D86C1080 4000000A
	ds_read_b32 v65, v10 offset:4288                           // 00000000272C: D86C10C0 4100000A
	ds_read_b32 v66, v10 offset:4352                           // 000000002734: D86C1100 4200000A
	ds_read_b32 v67, v10 offset:4416                           // 00000000273C: D86C1140 4300000A
	ds_read_b32 v68, v10 offset:4480                           // 000000002744: D86C1180 4400000A
	ds_read_b32 v69, v10 offset:4544                           // 00000000274C: D86C11C0 4500000A
	ds_read_b32 v70, v10 offset:4608                           // 000000002754: D86C1200 4600000A
	ds_read_b32 v71, v10 offset:4672                           // 00000000275C: D86C1240 4700000A
	ds_read_b32 v72, v10 offset:4736                           // 000000002764: D86C1280 4800000A
	ds_read_b32 v73, v10 offset:4800                           // 00000000276C: D86C12C0 4900000A
	ds_read_b32 v74, v10 offset:4864                           // 000000002774: D86C1300 4A00000A
	ds_read_b32 v75, v10 offset:4928                           // 00000000277C: D86C1340 4B00000A
	ds_read_b32 v76, v10 offset:4992                           // 000000002784: D86C1380 4C00000A
	ds_read_b32 v77, v10 offset:5056                           // 00000000278C: D86C13C0 4D00000A
	ds_read_b32 v78, v10 offset:5120                           // 000000002794: D86C1400 4E00000A
	ds_read_b32 v79, v10 offset:5184                           // 00000000279C: D86C1440 4F00000A
	s_waitcnt lgkmcnt(0)                                       // 0000000027A4: BF8CC07F
	v_max3_f32 v48, |v64|, |v65|, v48                          // 0000000027A8: D1D30330 04C28340
	v_max3_f32 v48, |v66|, |v67|, v48                          // 0000000027B0: D1D30330 04C28742
	v_max3_f32 v48, |v68|, |v69|, v48                          // 0000000027B8: D1D30330 04C28B44
	v_max3_f32 v48, |v70|, |v71|, v48                          // 0000000027C0: D1D30330 04C28F46
	v_max3_f32 v48, |v72|, |v73|, v48                          // 0000000027C8: D1D30330 04C29348
	v_max3_f32 v48, |v74|, |v75|, v48                          // 0000000027D0: D1D30330 04C2974A
	v_max3_f32 v48, |v76|, |v77|, v48                          // 0000000027D8: D1D30330 04C29B4C
	v_max3_f32 v48, |v78|, |v79|, v48                          // 0000000027E0: D1D30330 04C29F4E
	v_rcp_f32_e32 v48, v48                                     // 0000000027E8: 7E604530
	s_nop 1                                                    // 0000000027EC: BF800001
	v_mul_f32_e32 v48, 0x43e00000, v48                         // 0000000027F0: 0A6060FF 43E00000
	v_mul_f32_e32 v80, v48, v80                                // 0000000027F8: 0AA0A130
	v_mul_f32_e32 v81, v48, v81                                // 0000000027FC: 0AA2A330
	v_mul_f32_e32 v82, v48, v82                                // 000000002800: 0AA4A530
	v_mul_f32_e32 v83, v48, v83                                // 000000002804: 0AA6A730
	v_mul_f32_e32 v84, v48, v84                                // 000000002808: 0AA8A930
	v_mul_f32_e32 v85, v48, v85                                // 00000000280C: 0AAAAB30
	v_mul_f32_e32 v86, v48, v86                                // 000000002810: 0AACAD30
	v_mul_f32_e32 v87, v48, v87                                // 000000002814: 0AAEAF30
	v_rcp_f32_e32 v46, v48                                     // 000000002818: 7E5C4530
	v_cvt_pk_fp8_f32 v80, v80, v81                             // 00000000281C: D2A20050 0002A350
	v_cvt_pk_fp8_f32 v80, v82, v83 op_sel:[0,0,1]              // 000000002824: D2A24050 0002A752
	v_cvt_pk_fp8_f32 v81, v84, v85                             // 00000000282C: D2A20051 0002AB54
	v_cvt_pk_fp8_f32 v81, v86, v87 op_sel:[0,0,1]              // 000000002834: D2A24051 0002AF56
	ds_write_b32 v13, v80 offset:6272                          // 00000000283C: D81A1880 0000500D
	ds_write_b32 v13, v81 offset:7296                          // 000000002844: D81A1C80 0000510D
	s_waitcnt lgkmcnt(0)                                       // 00000000284C: BF8CC07F
	s_barrier                                                  // 000000002850: BF8A0000
	v_and_b32_e32 v46, v9, v46                                 // 000000002854: 265C5D09
	ds_read_b64 v[80:81], v12 offset:6272                      // 000000002858: D8EC1880 5000000C
	ds_read_b64 v[82:83], v12 offset:6400                      // 000000002860: D8EC1900 5200000C
	ds_read_b64 v[84:85], v12 offset:7296                      // 000000002868: D8EC1C80 5400000C
	ds_read_b64 v[86:87], v12 offset:7424                      // 000000002870: D8EC1D00 5600000C
	v_mov_b32_e32 v112, 0                                      // 000000002878: 7EE00280
	v_mov_b32_e32 v113, 0                                      // 00000000287C: 7EE20280
	v_mov_b32_e32 v114, 0                                      // 000000002880: 7EE40280
	v_mov_b32_e32 v115, 0                                      // 000000002884: 7EE60280
	v_mov_b32_e32 v104, 0                                      // 000000002888: 7ED00280
	v_mov_b32_e32 v105, 0                                      // 00000000288C: 7ED20280
	v_mov_b32_e32 v106, 0                                      // 000000002890: 7ED40280
	v_mov_b32_e32 v107, 0                                      // 000000002894: 7ED60280
	v_mov_b32_e32 v108, 0                                      // 000000002898: 7ED80280
	v_mov_b32_e32 v109, 0                                      // 00000000289C: 7EDA0280
	v_mov_b32_e32 v110, 0                                      // 0000000028A0: 7EDC0280
	v_mov_b32_e32 v111, 0                                      // 0000000028A4: 7EDE0280
	v_or_b32_dpp v46, v46, v46 row_shr:8 row_mask:0xf bank_mask:0xf bound_ctrl:1// 0000000028A8: 285C5CFA FF09182E
	v_and_b32_e32 v38, 15, v0                                  // 0000000028B0: 264C008F
	v_lshlrev_b32_e32 v38, 3, v38                              // 0000000028B4: 244C4C83
	v_lshrrev_b32_e32 v39, 4, v0                               // 0000000028B8: 204E0084
	v_lshlrev_b32_e32 v39, 9, v39                              // 0000000028BC: 244E4E89
	v_add_u32_e32 v12, v39, v38                                // 0000000028C0: 68184D27
	v_lshlrev_b32_e32 v38, 3, v0                               // 0000000028C4: 244C0083
	s_mul_i32 s60, 0x200, s7                                   // 0000000028C8: 923C07FF 00000200
	v_add_u32_e64 v13, v38, s60                                // 0000000028D0: D134000D 00007926
	s_waitcnt vmcnt(8) lgkmcnt(0)                              // 0000000028D8: BF8C0078
	s_barrier                                                  // 0000000028DC: BF8A0000
	s_cmp_lt_u32 s73, 16                                       // 0000000028E0: BF0A9049
	s_cbranch_scc1 label_0D45                                  // 0000000028E4: BF850B4B
	s_cmp_lt_i32 s7, 2                                         // 0000000028E8: BF048207
	s_cbranch_scc0 label_07A2                                  // 0000000028EC: BF8405A6

00000000000028f0 <label_01FC>:
	s_waitcnt vmcnt(8) lgkmcnt(0)                              // 0000000028F0: BF8C0078
	v_mul_u32_u24_dpp v38, v17, v51 row_newbcast:0 row_mask:0xf bank_mask:0xf// 0000000028F4: 104C66FA FF015011
	v_mul_u32_u24_dpp v39, v17, v51 row_newbcast:4 row_mask:0xf bank_mask:0xf// 0000000028FC: 104E66FA FF015411
	v_mul_u32_u24_dpp v40, v17, v51 row_newbcast:8 row_mask:0xf bank_mask:0xf// 000000002904: 105066FA FF015811
	v_mul_u32_u24_dpp v41, v17, v51 row_newbcast:12 row_mask:0xf bank_mask:0xf// 00000000290C: 105266FA FF015C11
	v_add_u32_e32 v26, v38, v6                                 // 000000002914: 68340D26
	v_add_u32_e32 v27, v39, v6                                 // 000000002918: 68360D27
	v_add_u32_e32 v28, v40, v6                                 // 00000000291C: 68380D28
	v_add_u32_e32 v29, v41, v6                                 // 000000002920: 683A0D29
	v_mul_u32_u24_dpp v38, v17, v61 quad_perm:[0,0,0,0] row_mask:0xf bank_mask:0xf// 000000002924: 104C7AFA FF000011
	v_add_u32_e32 v3, v38, v57                                 // 00000000292C: 68067326
	v_mul_u32_u24_dpp v38, v17, v61 quad_perm:[0,0,0,0] row_mask:0xf bank_mask:0xf// 000000002930: 104C7AFA FF000011
	v_add_u32_e32 v54, v38, v58                                // 000000002938: 686C7526
	v_mfma_f32_16x16x32_fp8_fp8 v[88:91], v[128:129], v[80:81], 0// 00000000293C: D3F30058 0202A180
	v_mfma_f32_16x16x32_fp8_fp8 v[88:91], v[130:131], v[82:83], v[88:91]// 000000002944: D3F30058 0562A582
	buffer_load_dwordx4 v[160:163], v26, s[16:19], 0 offen     // 00000000294C: E05C1000 8004A01A
	v_mfma_f32_16x16x32_fp8_fp8 v[88:91], v[132:133], v[84:85], v[88:91]// 000000002954: D3F30058 0562A984
	v_mfma_f32_16x16x32_fp8_fp8 v[88:91], v[134:135], v[86:87], v[88:91]// 00000000295C: D3F30058 0562AD86
	buffer_load_dword v16, v1, s[24:27], 0 offen               // 000000002964: E0501000 80061001
	v_mfma_f32_16x16x32_fp8_fp8 v[92:95], v[136:137], v[80:81], 0// 00000000296C: D3F3005C 0202A188
	v_mfma_f32_16x16x32_fp8_fp8 v[92:95], v[138:139], v[82:83], v[92:95]// 000000002974: D3F3005C 0572A58A
	buffer_load_dwordx4 v[164:167], v26, s[16:19], 0 offen offset:1024// 00000000297C: E05C1400 8004A41A
	v_mfma_f32_16x16x32_fp8_fp8 v[92:95], v[140:141], v[84:85], v[92:95]// 000000002984: D3F3005C 0572A98C
	v_mfma_f32_16x16x32_fp8_fp8 v[92:95], v[142:143], v[86:87], v[92:95]// 00000000298C: D3F3005C 0572AD8E
	v_mfma_f32_16x16x32_fp8_fp8 v[96:99], v[144:145], v[80:81], 0// 000000002994: D3F30060 0202A190
	v_mfma_f32_16x16x32_fp8_fp8 v[96:99], v[146:147], v[82:83], v[96:99]// 00000000299C: D3F30060 0582A592
	buffer_load_dwordx4 v[168:171], v27, s[16:19], 0 offen     // 0000000029A4: E05C1000 8004A81B
	v_mfma_f32_16x16x32_fp8_fp8 v[96:99], v[148:149], v[84:85], v[96:99]// 0000000029AC: D3F30060 0582A994
	v_mfma_f32_16x16x32_fp8_fp8 v[96:99], v[150:151], v[86:87], v[96:99]// 0000000029B4: D3F30060 0582AD96
	v_mfma_f32_16x16x32_fp8_fp8 v[100:103], v[152:153], v[80:81], 0// 0000000029BC: D3F30064 0202A198
	v_mfma_f32_16x16x32_fp8_fp8 v[100:103], v[154:155], v[82:83], v[100:103]// 0000000029C4: D3F30064 0592A59A
	buffer_load_dwordx4 v[172:175], v27, s[16:19], 0 offen offset:1024// 0000000029CC: E05C1400 8004AC1B
	v_mfma_f32_16x16x32_fp8_fp8 v[100:103], v[156:157], v[84:85], v[100:103]// 0000000029D4: D3F30064 0592A99C
	v_mfma_f32_16x16x32_fp8_fp8 v[100:103], v[158:159], v[86:87], v[100:103]// 0000000029DC: D3F30064 0592AD9E
	buffer_load_dword v45, v3, s[32:35], 0 offen               // 0000000029E4: E0501000 80082D03
	v_mov_b32_dpp v38, v44 row_shr:4 row_mask:0xf bank_mask:0xf// 0000000029EC: 7E4C02FA FF01142C
	v_mov_b32_dpp v39, v44 row_shl:4 row_mask:0xf bank_mask:0xf// 0000000029F4: 7E4E02FA FF01042C
	v_cndmask_b32_e64 v124, v44, v38, s[44:45]                 // 0000000029FC: D100007C 00B24D2C
	v_cndmask_b32_e64 v125, v39, v44, s[44:45]                 // 000000002A04: D100007D 00B25927
	v_mov_b32_dpp v38, v55 row_shr:4 row_mask:0xf bank_mask:0xf// 000000002A0C: 7E4C02FA FF011437
	v_mov_b32_dpp v39, v55 row_shl:4 row_mask:0xf bank_mask:0xf// 000000002A14: 7E4E02FA FF010437
	v_cndmask_b32_e64 v126, v55, v38, s[44:45]                 // 000000002A1C: D100007E 00B24D37
	v_cndmask_b32_e64 v127, v39, v55, s[44:45]                 // 000000002A24: D100007F 00B26F27
	v_or_b32_dpp v88, v96, v88 row_shr:8 row_mask:0xf bank_mask:0xf bound_ctrl:1// 000000002A2C: 28B0B0FA FF091860
	v_or_b32_dpp v89, v97, v89 row_shr:8 row_mask:0xf bank_mask:0xf bound_ctrl:1// 000000002A34: 28B2B2FA FF091861
	v_or_b32_dpp v90, v98, v90 row_shr:8 row_mask:0xf bank_mask:0xf bound_ctrl:1// 000000002A3C: 28B4B4FA FF091862
	v_or_b32_dpp v91, v99, v91 row_shr:8 row_mask:0xf bank_mask:0xf bound_ctrl:1// 000000002A44: 28B6B6FA FF091863
	v_or_b32_dpp v92, v100, v92 row_shr:8 row_mask:0xf bank_mask:0xf bound_ctrl:1// 000000002A4C: 28B8B8FA FF091864
	v_or_b32_dpp v93, v101, v93 row_shr:8 row_mask:0xf bank_mask:0xf bound_ctrl:1// 000000002A54: 28BABAFA FF091865
	v_or_b32_dpp v94, v102, v94 row_shr:8 row_mask:0xf bank_mask:0xf bound_ctrl:1// 000000002A5C: 28BCBCFA FF091866
	v_or_b32_dpp v95, v103, v95 row_shr:8 row_mask:0xf bank_mask:0xf bound_ctrl:1// 000000002A64: 28BEBEFA FF091867
	buffer_load_dword v56, v54, s[36:39], 0 offen              // 000000002A6C: E0501000 80093836
	v_mul_f32_e32 v88, v46, v88                                // 000000002A74: 0AB0B12E
	v_mul_f32_e32 v89, v46, v89                                // 000000002A78: 0AB2B32E
	v_mul_f32_e32 v90, v46, v90                                // 000000002A7C: 0AB4B52E
	v_mul_f32_e32 v91, v46, v91                                // 000000002A80: 0AB6B72E
	v_mul_f32_e32 v92, v46, v92                                // 000000002A84: 0AB8B92E
	v_mul_f32_e32 v93, v46, v93                                // 000000002A88: 0ABABB2E
	v_mul_f32_e32 v94, v46, v94                                // 000000002A8C: 0ABCBD2E
	v_mul_f32_e32 v95, v46, v95                                // 000000002A90: 0ABEBF2E
	buffer_load_dwordx4 v[176:179], v28, s[16:19], 0 offen     // 000000002A94: E05C1000 8004B01C
	v_mul_f32_dpp v88, v124, v88 quad_perm:[0,0,0,0] row_mask:0xf bank_mask:0xf// 000000002A9C: 0AB0B0FA FF00007C
	v_mul_f32_dpp v89, v124, v89 quad_perm:[1,1,1,1] row_mask:0xf bank_mask:0xf// 000000002AA4: 0AB2B2FA FF00557C
	v_mul_f32_dpp v90, v124, v90 quad_perm:[2,2,2,2] row_mask:0xf bank_mask:0xf// 000000002AAC: 0AB4B4FA FF00AA7C
	v_mul_f32_dpp v91, v124, v91 quad_perm:[3,3,3,3] row_mask:0xf bank_mask:0xf// 000000002AB4: 0AB6B6FA FF00FF7C
	v_mul_f32_dpp v92, v125, v92 quad_perm:[0,0,0,0] row_mask:0xf bank_mask:0xf// 000000002ABC: 0AB8B8FA FF00007D
	v_mul_f32_dpp v93, v125, v93 quad_perm:[1,1,1,1] row_mask:0xf bank_mask:0xf// 000000002AC4: 0ABABAFA FF00557D
	v_mul_f32_dpp v94, v125, v94 quad_perm:[2,2,2,2] row_mask:0xf bank_mask:0xf// 000000002ACC: 0ABCBCFA FF00AA7D
	v_mul_f32_dpp v95, v125, v95 quad_perm:[3,3,3,3] row_mask:0xf bank_mask:0xf// 000000002AD4: 0ABEBEFA FF00FF7D
	buffer_load_dwordx4 v[180:183], v28, s[16:19], 0 offen offset:1024// 000000002ADC: E05C1400 8004B41C
	v_mov_b32_e32 v48, v88                                     // 000000002AE4: 7E600358
	v_max3_f32 v48, v88, v89, v48                              // 000000002AE8: D1D30030 04C2B358
	v_max3_f32 v48, v90, v91, v48                              // 000000002AF0: D1D30030 04C2B75A
	v_max3_f32 v48, v92, v93, v48                              // 000000002AF8: D1D30030 04C2BB5C
	v_max3_f32 v48, v94, v95, v48                              // 000000002B00: D1D30030 04C2BF5E
	ds_write_b32 v11, v48 offset:4224                          // 000000002B08: D81A1080 0000300B
	buffer_load_dwordx4 v[184:187], v29, s[16:19], 0 offen     // 000000002B10: E05C1000 8004B81D
	v_mul_u32_u24_dpp v38, v17, v51 row_newbcast:1 row_mask:0xf bank_mask:0xf// 000000002B18: 104C66FA FF015111
	v_mul_u32_u24_dpp v39, v17, v51 row_newbcast:5 row_mask:0xf bank_mask:0xf// 000000002B20: 104E66FA FF015511
	v_mul_u32_u24_dpp v40, v17, v51 row_newbcast:9 row_mask:0xf bank_mask:0xf// 000000002B28: 105066FA FF015911
	v_mul_u32_u24_dpp v41, v17, v51 row_newbcast:13 row_mask:0xf bank_mask:0xf// 000000002B30: 105266FA FF015D11
	v_add_u32_e32 v34, v38, v7                                 // 000000002B38: 68440F26
	v_add_u32_e32 v35, v39, v7                                 // 000000002B3C: 68460F27
	v_add_u32_e32 v36, v40, v7                                 // 000000002B40: 68480F28
	v_add_u32_e32 v37, v41, v7                                 // 000000002B44: 684A0F29
	s_waitcnt lgkmcnt(0)                                       // 000000002B48: BF8CC07F
	s_barrier                                                  // 000000002B4C: BF8A0000
	ds_read_b32 v64, v10 offset:4224                           // 000000002B50: D86C1080 4000000A
	ds_read_b32 v65, v10 offset:4288                           // 000000002B58: D86C10C0 4100000A
	ds_read_b32 v66, v10 offset:4352                           // 000000002B60: D86C1100 4200000A
	ds_read_b32 v67, v10 offset:4416                           // 000000002B68: D86C1140 4300000A
	ds_read_b32 v68, v10 offset:4480                           // 000000002B70: D86C1180 4400000A
	ds_read_b32 v69, v10 offset:4544                           // 000000002B78: D86C11C0 4500000A
	ds_read_b32 v70, v10 offset:4608                           // 000000002B80: D86C1200 4600000A
	ds_read_b32 v71, v10 offset:4672                           // 000000002B88: D86C1240 4700000A
	ds_read_b32 v72, v10 offset:4736                           // 000000002B90: D86C1280 4800000A
	ds_read_b32 v73, v10 offset:4800                           // 000000002B98: D86C12C0 4900000A
	ds_read_b32 v74, v10 offset:4864                           // 000000002BA0: D86C1300 4A00000A
	ds_read_b32 v75, v10 offset:4928                           // 000000002BA8: D86C1340 4B00000A
	ds_read_b32 v76, v10 offset:4992                           // 000000002BB0: D86C1380 4C00000A
	ds_read_b32 v77, v10 offset:5056                           // 000000002BB8: D86C13C0 4D00000A
	ds_read_b32 v78, v10 offset:5120                           // 000000002BC0: D86C1400 4E00000A
	ds_read_b32 v79, v10 offset:5184                           // 000000002BC8: D86C1440 4F00000A
	buffer_load_dwordx4 v[188:191], v29, s[16:19], 0 offen offset:1024// 000000002BD0: E05C1400 8004BC1D
	v_mul_f32_e32 v112, v49, v112                              // 000000002BD8: 0AE0E131
	v_mul_f32_e32 v113, v49, v113                              // 000000002BDC: 0AE2E331
	v_mul_f32_e32 v114, v49, v114                              // 000000002BE0: 0AE4E531
	v_mul_f32_e32 v115, v49, v115                              // 000000002BE4: 0AE6E731
	v_or_b32_dpp v104, v108, v104 row_shr:8 row_mask:0xf bank_mask:0xf bound_ctrl:1// 000000002BE8: 28D0D0FA FF09186C
	v_or_b32_dpp v105, v109, v105 row_shr:8 row_mask:0xf bank_mask:0xf bound_ctrl:1// 000000002BF0: 28D2D2FA FF09186D
	v_or_b32_dpp v106, v110, v106 row_shr:8 row_mask:0xf bank_mask:0xf bound_ctrl:1// 000000002BF8: 28D4D4FA FF09186E
	v_or_b32_dpp v107, v111, v107 row_shr:8 row_mask:0xf bank_mask:0xf bound_ctrl:1// 000000002C00: 28D6D6FA FF09186F
	s_waitcnt lgkmcnt(0)                                       // 000000002C08: BF8CC07F
	v_max3_f32 v48, v64, v65, v48                              // 000000002C0C: D1D30030 04C28340
	v_max3_f32 v48, v66, v67, v48                              // 000000002C14: D1D30030 04C28742
	v_max3_f32 v48, v68, v69, v48                              // 000000002C1C: D1D30030 04C28B44
	v_max3_f32 v48, v70, v71, v48                              // 000000002C24: D1D30030 04C28F46
	v_max3_f32 v48, v72, v73, v48                              // 000000002C2C: D1D30030 04C29348
	v_max3_f32 v48, v74, v75, v48                              // 000000002C34: D1D30030 04C2974A
	v_max3_f32 v48, v76, v77, v48                              // 000000002C3C: D1D30030 04C29B4C
	v_max3_f32 v48, v78, v79, v48                              // 000000002C44: D1D30030 04C29F4E
	buffer_load_dwordx4 v[224:227], v34, s[20:23], 0 offen     // 000000002C4C: E05C1000 8005E022
	v_cmp_eq_u32_e64 s[40:41], v52, v14                        // 000000002C54: D0CA0028 00021D34
	s_nop 1                                                    // 000000002C5C: BF800001
	v_mov_b32_dpp v38, v48 row_ror:8 row_mask:0xf bank_mask:0xf// 000000002C60: 7E4C02FA FF012830
	v_max_f32_e32 v48, v48, v38                                // 000000002C68: 16604D30
	v_max_f32_e32 v15, v48, v14                                // 000000002C6C: 161E1D30
	v_mul_f32_e32 v50, s64, v15                                // 000000002C70: 0A641E40
	v_fma_f32 v88, v88, s64, -v50                              // 000000002C74: D1CB0058 84C88158
	v_fma_f32 v89, v89, s64, -v50                              // 000000002C7C: D1CB0059 84C88159
	v_fma_f32 v90, v90, s64, -v50                              // 000000002C84: D1CB005A 84C8815A
	v_fma_f32 v91, v91, s64, -v50                              // 000000002C8C: D1CB005B 84C8815B
	v_fma_f32 v92, v92, s64, -v50                              // 000000002C94: D1CB005C 84C8815C
	v_fma_f32 v93, v93, s64, -v50                              // 000000002C9C: D1CB005D 84C8815D
	v_fma_f32 v94, v94, s64, -v50                              // 000000002CA4: D1CB005E 84C8815E
	v_fma_f32 v95, v95, s64, -v50                              // 000000002CAC: D1CB005F 84C8815F
	buffer_load_dwordx4 v[228:231], v35, s[20:23], 0 offen     // 000000002CB4: E05C1000 8005E423
	v_exp_f32_e32 v88, v88                                     // 000000002CBC: 7EB04158
	v_exp_f32_e32 v89, v89                                     // 000000002CC0: 7EB24159
	v_exp_f32_e32 v90, v90                                     // 000000002CC4: 7EB4415A
	v_exp_f32_e32 v91, v91                                     // 000000002CC8: 7EB6415B
	v_exp_f32_e32 v92, v92                                     // 000000002CCC: 7EB8415C
	v_exp_f32_e32 v93, v93                                     // 000000002CD0: 7EBA415D
	v_exp_f32_e32 v94, v94                                     // 000000002CD4: 7EBC415E
	v_exp_f32_e32 v95, v95                                     // 000000002CD8: 7EBE415F
	buffer_load_dwordx4 v[232:235], v36, s[20:23], 0 offen     // 000000002CDC: E05C1000 8005E824
	v_mul_f32_dpp v116, v126, v88 quad_perm:[0,0,0,0] row_mask:0xf bank_mask:0xf// 000000002CE4: 0AE8B0FA FF00007E
	v_mul_f32_dpp v117, v126, v89 quad_perm:[1,1,1,1] row_mask:0xf bank_mask:0xf// 000000002CEC: 0AEAB2FA FF00557E
	v_mul_f32_dpp v118, v126, v90 quad_perm:[2,2,2,2] row_mask:0xf bank_mask:0xf// 000000002CF4: 0AECB4FA FF00AA7E
	v_mul_f32_dpp v119, v126, v91 quad_perm:[3,3,3,3] row_mask:0xf bank_mask:0xf// 000000002CFC: 0AEEB6FA FF00FF7E
	v_mul_f32_dpp v120, v127, v92 quad_perm:[0,0,0,0] row_mask:0xf bank_mask:0xf// 000000002D04: 0AF0B8FA FF00007F
	v_mul_f32_dpp v121, v127, v93 quad_perm:[1,1,1,1] row_mask:0xf bank_mask:0xf// 000000002D0C: 0AF2BAFA FF00557F
	v_mul_f32_dpp v122, v127, v94 quad_perm:[2,2,2,2] row_mask:0xf bank_mask:0xf// 000000002D14: 0AF4BCFA FF00AA7F
	v_mul_f32_dpp v123, v127, v95 quad_perm:[3,3,3,3] row_mask:0xf bank_mask:0xf// 000000002D1C: 0AF6BEFA FF00FF7F
	buffer_load_dwordx4 v[236:239], v37, s[20:23], 0 offen     // 000000002D24: E05C1000 8005EC25
	v_sub_f32_e32 v49, v14, v15                                // 000000002D2C: 04621F0E
	v_cndmask_b32_e64 v49, v49, 0, s[40:41]                    // 000000002D30: D1000031 00A10131
	v_mov_b32_e32 v14, v15                                     // 000000002D38: 7E1C030F
	v_mul_f32_e32 v49, s64, v49                                // 000000002D3C: 0A626240
	v_exp_f32_e32 v49, v49                                     // 000000002D40: 7E624131
	s_nop 2                                                    // 000000002D44: BF800002
	v_mul_f32_e32 v42, v49, v42                                // 000000002D48: 0A545531
	v_mov_b32_e32 v43, v88                                     // 000000002D4C: 7E560358
	v_add_f32_e32 v43, v89, v43                                // 000000002D50: 02565759
	v_add_f32_e32 v43, v90, v43                                // 000000002D54: 0256575A
	v_add_f32_e32 v43, v91, v43                                // 000000002D58: 0256575B
	v_add_f32_e32 v43, v92, v43                                // 000000002D5C: 0256575C
	v_add_f32_e32 v43, v93, v43                                // 000000002D60: 0256575D
	v_add_f32_e32 v43, v94, v43                                // 000000002D64: 0256575E
	v_add_f32_e32 v43, v95, v43                                // 000000002D68: 0256575F
	v_add_f32_e32 v42, v43, v42                                // 000000002D6C: 0254552B
	v_perm_b32 v88, v117, v116, s52                            // 000000002D70: D1ED0058 00D2E975
	v_perm_b32 v89, v119, v118, s52                            // 000000002D78: D1ED0059 00D2ED77
	v_perm_b32 v90, v121, v120, s52                            // 000000002D80: D1ED005A 00D2F179
	v_perm_b32 v91, v123, v122, s52                            // 000000002D88: D1ED005B 00D2F57B
	s_nop 2                                                    // 000000002D90: BF800002
	v_mov_b32_dpp v38, v48 row_ror:8 row_mask:0xf bank_mask:0xf// 000000002D94: 7E4C02FA FF012830
	v_max_f32_e32 v48, v48, v38                                // 000000002D9C: 16604D30
	ds_write_b64 v13, v[88:89] offset:6272                     // 000000002DA0: D89A1880 0000580D
	ds_write_b64 v13, v[90:91] offset:8320                     // 000000002DA8: D89A2080 00005A0D
	s_waitcnt vmcnt(19)                                        // 000000002DB0: BF8C4F73
	v_cvt_pk_f32_fp8_sdwa v[38:39], v192 src0_sel:WORD_0       // 000000002DB4: 7E4CACF9 000406C0
	v_cvt_pk_f32_fp8_sdwa v[40:41], v192 src0_sel:WORD_1       // 000000002DBC: 7E50ACF9 000506C0
	v_perm_b32 v128, v39, v38, s52                             // 000000002DC4: D1ED0080 00D24D27
	v_perm_b32 v129, v41, v40, s52                             // 000000002DCC: D1ED0081 00D25129
	v_cvt_pk_f32_fp8_sdwa v[38:39], v193 src0_sel:WORD_0       // 000000002DD4: 7E4CACF9 000406C1
	v_cvt_pk_f32_fp8_sdwa v[40:41], v193 src0_sel:WORD_1       // 000000002DDC: 7E50ACF9 000506C1
	v_perm_b32 v130, v39, v38, s52                             // 000000002DE4: D1ED0082 00D24D27
	v_perm_b32 v131, v41, v40, s52                             // 000000002DEC: D1ED0083 00D25129
	v_cvt_pk_f32_fp8_sdwa v[38:39], v194 src0_sel:WORD_0       // 000000002DF4: 7E4CACF9 000406C2
	v_cvt_pk_f32_fp8_sdwa v[40:41], v194 src0_sel:WORD_1       // 000000002DFC: 7E50ACF9 000506C2
	v_perm_b32 v132, v39, v38, s52                             // 000000002E04: D1ED0084 00D24D27
	v_perm_b32 v133, v41, v40, s52                             // 000000002E0C: D1ED0085 00D25129
	v_cvt_pk_f32_fp8_sdwa v[38:39], v195 src0_sel:WORD_0       // 000000002E14: 7E4CACF9 000406C3
	v_cvt_pk_f32_fp8_sdwa v[40:41], v195 src0_sel:WORD_1       // 000000002E1C: 7E50ACF9 000506C3
	v_perm_b32 v134, v39, v38, s52                             // 000000002E24: D1ED0086 00D24D27
	v_perm_b32 v135, v41, v40, s52                             // 000000002E2C: D1ED0087 00D25129
	v_cvt_pk_f32_fp8_sdwa v[38:39], v196 src0_sel:WORD_0       // 000000002E34: 7E4CACF9 000406C4
	v_cvt_pk_f32_fp8_sdwa v[40:41], v196 src0_sel:WORD_1       // 000000002E3C: 7E50ACF9 000506C4
	v_perm_b32 v136, v39, v38, s52                             // 000000002E44: D1ED0088 00D24D27
	v_perm_b32 v137, v41, v40, s52                             // 000000002E4C: D1ED0089 00D25129
	v_cvt_pk_f32_fp8_sdwa v[38:39], v197 src0_sel:WORD_0       // 000000002E54: 7E4CACF9 000406C5
	v_cvt_pk_f32_fp8_sdwa v[40:41], v197 src0_sel:WORD_1       // 000000002E5C: 7E50ACF9 000506C5
	v_perm_b32 v138, v39, v38, s52                             // 000000002E64: D1ED008A 00D24D27
	v_perm_b32 v139, v41, v40, s52                             // 000000002E6C: D1ED008B 00D25129
	v_cvt_pk_f32_fp8_sdwa v[38:39], v198 src0_sel:WORD_0       // 000000002E74: 7E4CACF9 000406C6
	v_cvt_pk_f32_fp8_sdwa v[40:41], v198 src0_sel:WORD_1       // 000000002E7C: 7E50ACF9 000506C6
	v_perm_b32 v140, v39, v38, s52                             // 000000002E84: D1ED008C 00D24D27
	v_perm_b32 v141, v41, v40, s52                             // 000000002E8C: D1ED008D 00D25129
	v_cvt_pk_f32_fp8_sdwa v[38:39], v199 src0_sel:WORD_0       // 000000002E94: 7E4CACF9 000406C7
	v_cvt_pk_f32_fp8_sdwa v[40:41], v199 src0_sel:WORD_1       // 000000002E9C: 7E50ACF9 000506C7
	v_perm_b32 v142, v39, v38, s52                             // 000000002EA4: D1ED008E 00D24D27
	v_perm_b32 v143, v41, v40, s52                             // 000000002EAC: D1ED008F 00D25129
	v_cvt_pk_f32_fp8_sdwa v[38:39], v200 src0_sel:WORD_0       // 000000002EB4: 7E4CACF9 000406C8
	v_cvt_pk_f32_fp8_sdwa v[40:41], v200 src0_sel:WORD_1       // 000000002EBC: 7E50ACF9 000506C8
	v_perm_b32 v144, v39, v38, s52                             // 000000002EC4: D1ED0090 00D24D27
	v_perm_b32 v145, v41, v40, s52                             // 000000002ECC: D1ED0091 00D25129
	v_cvt_pk_f32_fp8_sdwa v[38:39], v201 src0_sel:WORD_0       // 000000002ED4: 7E4CACF9 000406C9
	v_cvt_pk_f32_fp8_sdwa v[40:41], v201 src0_sel:WORD_1       // 000000002EDC: 7E50ACF9 000506C9
	v_perm_b32 v146, v39, v38, s52                             // 000000002EE4: D1ED0092 00D24D27
	v_perm_b32 v147, v41, v40, s52                             // 000000002EEC: D1ED0093 00D25129
	v_cvt_pk_f32_fp8_sdwa v[38:39], v202 src0_sel:WORD_0       // 000000002EF4: 7E4CACF9 000406CA
	v_cvt_pk_f32_fp8_sdwa v[40:41], v202 src0_sel:WORD_1       // 000000002EFC: 7E50ACF9 000506CA
	v_perm_b32 v148, v39, v38, s52                             // 000000002F04: D1ED0094 00D24D27
	v_perm_b32 v149, v41, v40, s52                             // 000000002F0C: D1ED0095 00D25129
	v_cvt_pk_f32_fp8_sdwa v[38:39], v203 src0_sel:WORD_0       // 000000002F14: 7E4CACF9 000406CB
	v_cvt_pk_f32_fp8_sdwa v[40:41], v203 src0_sel:WORD_1       // 000000002F1C: 7E50ACF9 000506CB
	v_perm_b32 v150, v39, v38, s52                             // 000000002F24: D1ED0096 00D24D27
	v_perm_b32 v151, v41, v40, s52                             // 000000002F2C: D1ED0097 00D25129
	v_cvt_pk_f32_fp8_sdwa v[38:39], v204 src0_sel:WORD_0       // 000000002F34: 7E4CACF9 000406CC
	v_cvt_pk_f32_fp8_sdwa v[40:41], v204 src0_sel:WORD_1       // 000000002F3C: 7E50ACF9 000506CC
	v_perm_b32 v152, v39, v38, s52                             // 000000002F44: D1ED0098 00D24D27
	v_perm_b32 v153, v41, v40, s52                             // 000000002F4C: D1ED0099 00D25129
	v_cvt_pk_f32_fp8_sdwa v[38:39], v205 src0_sel:WORD_0       // 000000002F54: 7E4CACF9 000406CD
	v_cvt_pk_f32_fp8_sdwa v[40:41], v205 src0_sel:WORD_1       // 000000002F5C: 7E50ACF9 000506CD
	v_perm_b32 v154, v39, v38, s52                             // 000000002F64: D1ED009A 00D24D27
	v_perm_b32 v155, v41, v40, s52                             // 000000002F6C: D1ED009B 00D25129
	v_cvt_pk_f32_fp8_sdwa v[38:39], v206 src0_sel:WORD_0       // 000000002F74: 7E4CACF9 000406CE
	v_cvt_pk_f32_fp8_sdwa v[40:41], v206 src0_sel:WORD_1       // 000000002F7C: 7E50ACF9 000506CE
	v_perm_b32 v156, v39, v38, s52                             // 000000002F84: D1ED009C 00D24D27
	v_perm_b32 v157, v41, v40, s52                             // 000000002F8C: D1ED009D 00D25129
	v_cvt_pk_f32_fp8_sdwa v[38:39], v207 src0_sel:WORD_0       // 000000002F94: 7E4CACF9 000406CF
	v_cvt_pk_f32_fp8_sdwa v[40:41], v207 src0_sel:WORD_1       // 000000002F9C: 7E50ACF9 000506CF
	v_perm_b32 v158, v39, v38, s52                             // 000000002FA4: D1ED009E 00D24D27
	v_perm_b32 v159, v41, v40, s52                             // 000000002FAC: D1ED009F 00D25129
	s_waitcnt lgkmcnt(0)                                       // 000000002FB4: BF8CC07F
	s_barrier                                                  // 000000002FB8: BF8A0000
	ds_read_b64 v[88:89], v12 offset:6272                      // 000000002FBC: D8EC1880 5800000C
	ds_read_b64 v[90:91], v12 offset:6400                      // 000000002FC4: D8EC1900 5A00000C
	ds_read_b64 v[92:93], v12 offset:6528                      // 000000002FCC: D8EC1980 5C00000C
	ds_read_b64 v[94:95], v12 offset:6656                      // 000000002FD4: D8EC1A00 5E00000C
	ds_read_b64 v[96:97], v12 offset:8320                      // 000000002FDC: D8EC2080 6000000C
	ds_read_b64 v[98:99], v12 offset:8448                      // 000000002FE4: D8EC2100 6200000C
	ds_read_b64 v[100:101], v12 offset:8576                    // 000000002FEC: D8EC2180 6400000C
	ds_read_b64 v[102:103], v12 offset:8704                    // 000000002FF4: D8EC2200 6600000C
	s_waitcnt vmcnt(15)                                        // 000000002FFC: BF8C0F7F
	v_cvt_pk_f32_fp8_sdwa v[38:39], v208 src0_sel:WORD_0       // 000000003000: 7E4CACF9 000406D0
	v_cvt_pk_f32_fp8_sdwa v[40:41], v208 src0_sel:WORD_1       // 000000003008: 7E50ACF9 000506D0
	v_perm_b32 v192, v39, v38, s52                             // 000000003010: D1ED00C0 00D24D27
	v_perm_b32 v193, v41, v40, s52                             // 000000003018: D1ED00C1 00D25129
	v_cvt_pk_f32_fp8_sdwa v[38:39], v209 src0_sel:WORD_0       // 000000003020: 7E4CACF9 000406D1
	v_cvt_pk_f32_fp8_sdwa v[40:41], v209 src0_sel:WORD_1       // 000000003028: 7E50ACF9 000506D1
	v_perm_b32 v194, v39, v38, s52                             // 000000003030: D1ED00C2 00D24D27
	v_perm_b32 v195, v41, v40, s52                             // 000000003038: D1ED00C3 00D25129
	v_cvt_pk_f32_fp8_sdwa v[38:39], v210 src0_sel:WORD_0       // 000000003040: 7E4CACF9 000406D2
	v_cvt_pk_f32_fp8_sdwa v[40:41], v210 src0_sel:WORD_1       // 000000003048: 7E50ACF9 000506D2
	v_perm_b32 v196, v39, v38, s52                             // 000000003050: D1ED00C4 00D24D27
	v_perm_b32 v197, v41, v40, s52                             // 000000003058: D1ED00C5 00D25129
	v_cvt_pk_f32_fp8_sdwa v[38:39], v211 src0_sel:WORD_0       // 000000003060: 7E4CACF9 000406D3
	v_cvt_pk_f32_fp8_sdwa v[40:41], v211 src0_sel:WORD_1       // 000000003068: 7E50ACF9 000506D3
	v_perm_b32 v198, v39, v38, s52                             // 000000003070: D1ED00C6 00D24D27
	v_perm_b32 v199, v41, v40, s52                             // 000000003078: D1ED00C7 00D25129
	v_cvt_pk_f32_fp8_sdwa v[38:39], v212 src0_sel:WORD_0       // 000000003080: 7E4CACF9 000406D4
	v_cvt_pk_f32_fp8_sdwa v[40:41], v212 src0_sel:WORD_1       // 000000003088: 7E50ACF9 000506D4
	v_perm_b32 v200, v39, v38, s52                             // 000000003090: D1ED00C8 00D24D27
	v_perm_b32 v201, v41, v40, s52                             // 000000003098: D1ED00C9 00D25129
	v_cvt_pk_f32_fp8_sdwa v[38:39], v213 src0_sel:WORD_0       // 0000000030A0: 7E4CACF9 000406D5
	v_cvt_pk_f32_fp8_sdwa v[40:41], v213 src0_sel:WORD_1       // 0000000030A8: 7E50ACF9 000506D5
	v_perm_b32 v202, v39, v38, s52                             // 0000000030B0: D1ED00CA 00D24D27
	v_perm_b32 v203, v41, v40, s52                             // 0000000030B8: D1ED00CB 00D25129
	v_cvt_pk_f32_fp8_sdwa v[38:39], v214 src0_sel:WORD_0       // 0000000030C0: 7E4CACF9 000406D6
	v_cvt_pk_f32_fp8_sdwa v[40:41], v214 src0_sel:WORD_1       // 0000000030C8: 7E50ACF9 000506D6
	v_perm_b32 v204, v39, v38, s52                             // 0000000030D0: D1ED00CC 00D24D27
	v_perm_b32 v205, v41, v40, s52                             // 0000000030D8: D1ED00CD 00D25129
	v_cvt_pk_f32_fp8_sdwa v[38:39], v215 src0_sel:WORD_0       // 0000000030E0: 7E4CACF9 000406D7
	v_cvt_pk_f32_fp8_sdwa v[40:41], v215 src0_sel:WORD_1       // 0000000030E8: 7E50ACF9 000506D7
	v_perm_b32 v206, v39, v38, s52                             // 0000000030F0: D1ED00CE 00D24D27
	v_perm_b32 v207, v41, v40, s52                             // 0000000030F8: D1ED00CF 00D25129
	v_cvt_pk_f32_fp8_sdwa v[38:39], v216 src0_sel:WORD_0       // 000000003100: 7E4CACF9 000406D8
	v_cvt_pk_f32_fp8_sdwa v[40:41], v216 src0_sel:WORD_1       // 000000003108: 7E50ACF9 000506D8
	v_perm_b32 v208, v39, v38, s52                             // 000000003110: D1ED00D0 00D24D27
	v_perm_b32 v209, v41, v40, s52                             // 000000003118: D1ED00D1 00D25129
	v_cvt_pk_f32_fp8_sdwa v[38:39], v217 src0_sel:WORD_0       // 000000003120: 7E4CACF9 000406D9
	v_cvt_pk_f32_fp8_sdwa v[40:41], v217 src0_sel:WORD_1       // 000000003128: 7E50ACF9 000506D9
	v_perm_b32 v210, v39, v38, s52                             // 000000003130: D1ED00D2 00D24D27
	v_perm_b32 v211, v41, v40, s52                             // 000000003138: D1ED00D3 00D25129
	v_cvt_pk_f32_fp8_sdwa v[38:39], v218 src0_sel:WORD_0       // 000000003140: 7E4CACF9 000406DA
	v_cvt_pk_f32_fp8_sdwa v[40:41], v218 src0_sel:WORD_1       // 000000003148: 7E50ACF9 000506DA
	v_perm_b32 v212, v39, v38, s52                             // 000000003150: D1ED00D4 00D24D27
	v_perm_b32 v213, v41, v40, s52                             // 000000003158: D1ED00D5 00D25129
	v_cvt_pk_f32_fp8_sdwa v[38:39], v219 src0_sel:WORD_0       // 000000003160: 7E4CACF9 000406DB
	v_cvt_pk_f32_fp8_sdwa v[40:41], v219 src0_sel:WORD_1       // 000000003168: 7E50ACF9 000506DB
	v_perm_b32 v214, v39, v38, s52                             // 000000003170: D1ED00D6 00D24D27
	v_perm_b32 v215, v41, v40, s52                             // 000000003178: D1ED00D7 00D25129
	v_cvt_pk_f32_fp8_sdwa v[38:39], v220 src0_sel:WORD_0       // 000000003180: 7E4CACF9 000406DC
	v_cvt_pk_f32_fp8_sdwa v[40:41], v220 src0_sel:WORD_1       // 000000003188: 7E50ACF9 000506DC
	v_perm_b32 v216, v39, v38, s52                             // 000000003190: D1ED00D8 00D24D27
	v_perm_b32 v217, v41, v40, s52                             // 000000003198: D1ED00D9 00D25129
	v_cvt_pk_f32_fp8_sdwa v[38:39], v221 src0_sel:WORD_0       // 0000000031A0: 7E4CACF9 000406DD
	v_cvt_pk_f32_fp8_sdwa v[40:41], v221 src0_sel:WORD_1       // 0000000031A8: 7E50ACF9 000506DD
	v_perm_b32 v218, v39, v38, s52                             // 0000000031B0: D1ED00DA 00D24D27
	v_perm_b32 v219, v41, v40, s52                             // 0000000031B8: D1ED00DB 00D25129
	v_cvt_pk_f32_fp8_sdwa v[38:39], v222 src0_sel:WORD_0       // 0000000031C0: 7E4CACF9 000406DE
	v_cvt_pk_f32_fp8_sdwa v[40:41], v222 src0_sel:WORD_1       // 0000000031C8: 7E50ACF9 000506DE
	v_perm_b32 v220, v39, v38, s52                             // 0000000031D0: D1ED00DC 00D24D27
	v_perm_b32 v221, v41, v40, s52                             // 0000000031D8: D1ED00DD 00D25129
	v_cvt_pk_f32_fp8_sdwa v[38:39], v223 src0_sel:WORD_0       // 0000000031E0: 7E4CACF9 000406DF
	v_cvt_pk_f32_fp8_sdwa v[40:41], v223 src0_sel:WORD_1       // 0000000031E8: 7E50ACF9 000506DF
	v_perm_b32 v222, v39, v38, s52                             // 0000000031F0: D1ED00DE 00D24D27
	v_perm_b32 v223, v41, v40, s52                             // 0000000031F8: D1ED00DF 00D25129
	v_add_f32_e32 v112, v112, v104                             // 000000003200: 02E0D170
	v_add_f32_e32 v113, v113, v105                             // 000000003204: 02E2D371
	v_add_f32_e32 v114, v114, v106                             // 000000003208: 02E4D572
	v_add_f32_e32 v115, v115, v107                             // 00000000320C: 02E6D773
	s_waitcnt lgkmcnt(7)                                       // 000000003210: BF8CC77F
	v_mov_b32_dpp v64, v88 row_shl:8 row_mask:0xf bank_mask:0xf bound_ctrl:1// 000000003214: 7E8002FA FF090858
	v_and_b32_e32 v88, v88, v9                                 // 00000000321C: 26B01358
	v_mov_b32_dpp v65, v89 row_shl:8 row_mask:0xf bank_mask:0xf bound_ctrl:1// 000000003220: 7E8202FA FF090859
	v_and_b32_e32 v89, v89, v9                                 // 000000003228: 26B21359
	s_waitcnt lgkmcnt(6)                                       // 00000000322C: BF8CC67F
	v_mov_b32_dpp v66, v90 row_shl:8 row_mask:0xf bank_mask:0xf bound_ctrl:1// 000000003230: 7E8402FA FF09085A
	v_and_b32_e32 v90, v90, v9                                 // 000000003238: 26B4135A
	v_mov_b32_dpp v67, v91 row_shl:8 row_mask:0xf bank_mask:0xf bound_ctrl:1// 00000000323C: 7E8602FA FF09085B
	v_and_b32_e32 v91, v91, v9                                 // 000000003244: 26B6135B
	s_waitcnt lgkmcnt(5)                                       // 000000003248: BF8CC57F
	v_mov_b32_dpp v68, v92 row_shl:8 row_mask:0xf bank_mask:0xf bound_ctrl:1// 00000000324C: 7E8802FA FF09085C
	v_and_b32_e32 v92, v92, v9                                 // 000000003254: 26B8135C
	v_mov_b32_dpp v69, v93 row_shl:8 row_mask:0xf bank_mask:0xf bound_ctrl:1// 000000003258: 7E8A02FA FF09085D
	v_and_b32_e32 v93, v93, v9                                 // 000000003260: 26BA135D
	s_waitcnt lgkmcnt(4)                                       // 000000003264: BF8CC47F
	v_mov_b32_dpp v70, v94 row_shl:8 row_mask:0xf bank_mask:0xf bound_ctrl:1// 000000003268: 7E8C02FA FF09085E
	v_and_b32_e32 v94, v94, v9                                 // 000000003270: 26BC135E
	v_mov_b32_dpp v71, v95 row_shl:8 row_mask:0xf bank_mask:0xf bound_ctrl:1// 000000003274: 7E8E02FA FF09085F
	v_and_b32_e32 v95, v95, v9                                 // 00000000327C: 26BE135F
	s_waitcnt lgkmcnt(3)                                       // 000000003280: BF8CC37F
	v_mov_b32_dpp v72, v96 row_shl:8 row_mask:0xf bank_mask:0xf bound_ctrl:1// 000000003284: 7E9002FA FF090860
	v_and_b32_e32 v96, v96, v9                                 // 00000000328C: 26C01360
	v_mov_b32_dpp v73, v97 row_shl:8 row_mask:0xf bank_mask:0xf bound_ctrl:1// 000000003290: 7E9202FA FF090861
	v_and_b32_e32 v97, v97, v9                                 // 000000003298: 26C21361
	s_waitcnt lgkmcnt(2)                                       // 00000000329C: BF8CC27F
	v_mov_b32_dpp v74, v98 row_shl:8 row_mask:0xf bank_mask:0xf bound_ctrl:1// 0000000032A0: 7E9402FA FF090862
	v_and_b32_e32 v98, v98, v9                                 // 0000000032A8: 26C41362
	v_mov_b32_dpp v75, v99 row_shl:8 row_mask:0xf bank_mask:0xf bound_ctrl:1// 0000000032AC: 7E9602FA FF090863
	v_and_b32_e32 v99, v99, v9                                 // 0000000032B4: 26C61363
	s_waitcnt lgkmcnt(1)                                       // 0000000032B8: BF8CC17F
	v_mov_b32_dpp v76, v100 row_shl:8 row_mask:0xf bank_mask:0xf bound_ctrl:1// 0000000032BC: 7E9802FA FF090864
	v_and_b32_e32 v100, v100, v9                               // 0000000032C4: 26C81364
	v_mov_b32_dpp v77, v101 row_shl:8 row_mask:0xf bank_mask:0xf bound_ctrl:1// 0000000032C8: 7E9A02FA FF090865
	v_and_b32_e32 v101, v101, v9                               // 0000000032D0: 26CA1365
	s_waitcnt lgkmcnt(0)                                       // 0000000032D4: BF8CC07F
	v_mov_b32_dpp v78, v102 row_shl:8 row_mask:0xf bank_mask:0xf bound_ctrl:1// 0000000032D8: 7E9C02FA FF090866
	v_and_b32_e32 v102, v102, v9                               // 0000000032E0: 26CC1366
	v_mov_b32_dpp v79, v103 row_shl:8 row_mask:0xf bank_mask:0xf bound_ctrl:1// 0000000032E4: 7E9E02FA FF090867
	v_and_b32_e32 v103, v103, v9                               // 0000000032EC: 26CE1367
	s_waitcnt vmcnt(15)                                        // 0000000032F0: BF8C0F7F
	v_mfma_f32_16x16x16_bf16 v[104:107], v[128:129], v[88:89], 0// 0000000032F4: D3E10068 0202B180
	v_mfma_f32_16x16x16_bf16 v[104:107], v[130:131], v[90:91], v[104:107]// 0000000032FC: D3E10068 05A2B582
	buffer_load_dwordx4 v[240:243], v34, s[20:23], 0 offen offset:1024// 000000003304: E05C1400 8005F022
	v_mfma_f32_16x16x16_bf16 v[104:107], v[132:133], v[92:93], v[104:107]// 00000000330C: D3E10068 05A2B984
	v_mfma_f32_16x16x16_bf16 v[104:107], v[134:135], v[94:95], v[104:107]// 000000003314: D3E10068 05A2BD86
	v_mfma_f32_16x16x16_bf16 v[104:107], v[136:137], v[96:97], v[104:107]// 00000000331C: D3E10068 05A2C188
	v_mfma_f32_16x16x16_bf16 v[104:107], v[138:139], v[98:99], v[104:107]// 000000003324: D3E10068 05A2C58A
	buffer_load_dwordx4 v[244:247], v35, s[20:23], 0 offen offset:1024// 00000000332C: E05C1400 8005F423
	v_mfma_f32_16x16x16_bf16 v[104:107], v[140:141], v[100:101], v[104:107]// 000000003334: D3E10068 05A2C98C
	v_mfma_f32_16x16x16_bf16 v[104:107], v[142:143], v[102:103], v[104:107]// 00000000333C: D3E10068 05A2CD8E
	v_mfma_f32_16x16x16_bf16 v[104:107], v[144:145], v[64:65], v[104:107]// 000000003344: D3E10068 05A28190
	v_mfma_f32_16x16x16_bf16 v[104:107], v[146:147], v[66:67], v[104:107]// 00000000334C: D3E10068 05A28592
	buffer_load_dwordx4 v[248:251], v36, s[20:23], 0 offen offset:1024// 000000003354: E05C1400 8005F824
	v_mfma_f32_16x16x16_bf16 v[104:107], v[148:149], v[68:69], v[104:107]// 00000000335C: D3E10068 05A28994
	v_mfma_f32_16x16x16_bf16 v[104:107], v[150:151], v[70:71], v[104:107]// 000000003364: D3E10068 05A28D96
	v_mfma_f32_16x16x16_bf16 v[104:107], v[152:153], v[72:73], v[104:107]// 00000000336C: D3E10068 05A29198
	v_mfma_f32_16x16x16_bf16 v[104:107], v[154:155], v[74:75], v[104:107]// 000000003374: D3E10068 05A2959A
	buffer_load_dwordx4 v[252:255], v37, s[20:23], 0 offen offset:1024// 00000000337C: E05C1400 8005FC25
	v_mfma_f32_16x16x16_bf16 v[104:107], v[156:157], v[76:77], v[104:107]// 000000003384: D3E10068 05A2999C
	s_lshr_b32 s57, s70, 4                                     // 00000000338C: 8F398446
	s_add_u32 s57, 48, s57                                     // 000000003390: 803939B0
	v_mfma_f32_16x16x16_bf16 v[104:107], v[158:159], v[78:79], v[104:107]// 000000003394: D3E10068 05A29D9E
	s_cmp_ge_u32 s57, s73                                      // 00000000339C: BF094939
	s_cselect_b32 s56, 0, s56                                  // 0000000033A0: 85383880
	v_mfma_f32_16x16x16_bf16 v[108:111], v[192:193], v[88:89], 0// 0000000033A4: D3E1006C 0202B1C0
	v_mfma_f32_16x16x16_bf16 v[108:111], v[194:195], v[90:91], v[108:111]// 0000000033AC: D3E1006C 05B2B5C2
	v_mfma_f32_16x16x16_bf16 v[108:111], v[196:197], v[92:93], v[108:111]// 0000000033B4: D3E1006C 05B2B9C4
	v_mfma_f32_16x16x16_bf16 v[108:111], v[198:199], v[94:95], v[108:111]// 0000000033BC: D3E1006C 05B2BDC6
	v_mfma_f32_16x16x16_bf16 v[108:111], v[200:201], v[96:97], v[108:111]// 0000000033C4: D3E1006C 05B2C1C8
	v_mfma_f32_16x16x16_bf16 v[108:111], v[202:203], v[98:99], v[108:111]// 0000000033CC: D3E1006C 05B2C5CA
	v_mfma_f32_16x16x16_bf16 v[108:111], v[204:205], v[100:101], v[108:111]// 0000000033D4: D3E1006C 05B2C9CC
	v_mfma_f32_16x16x16_bf16 v[108:111], v[206:207], v[102:103], v[108:111]// 0000000033DC: D3E1006C 05B2CDCE
	v_mfma_f32_16x16x16_bf16 v[108:111], v[208:209], v[64:65], v[108:111]// 0000000033E4: D3E1006C 05B281D0
	v_mfma_f32_16x16x16_bf16 v[108:111], v[210:211], v[66:67], v[108:111]// 0000000033EC: D3E1006C 05B285D2
	v_mfma_f32_16x16x16_bf16 v[108:111], v[212:213], v[68:69], v[108:111]// 0000000033F4: D3E1006C 05B289D4
	v_mfma_f32_16x16x16_bf16 v[108:111], v[214:215], v[70:71], v[108:111]// 0000000033FC: D3E1006C 05B28DD6
	v_mfma_f32_16x16x16_bf16 v[108:111], v[216:217], v[72:73], v[108:111]// 000000003404: D3E1006C 05B291D8
	v_mfma_f32_16x16x16_bf16 v[108:111], v[218:219], v[74:75], v[108:111]// 00000000340C: D3E1006C 05B295DA
	v_mfma_f32_16x16x16_bf16 v[108:111], v[220:221], v[76:77], v[108:111]// 000000003414: D3E1006C 05B299DC
	v_mfma_f32_16x16x16_bf16 v[108:111], v[222:223], v[78:79], v[108:111]// 00000000341C: D3E1006C 05B29DDE
	v_add_u32_e32 v1, s56, v1                                  // 000000003424: 68020238
	s_addk_i32 s70, 0x100                                      // 000000003428: B7460100
	s_cmp_lt_i32 s70, s71                                      // 00000000342C: BF044746
	s_cbranch_scc0 label_079F                                  // 000000003430: BF8402D2
	s_waitcnt vmcnt(8) lgkmcnt(0)                              // 000000003434: BF8C0078
	v_mul_u32_u24_dpp v38, v16, v51 row_newbcast:0 row_mask:0xf bank_mask:0xf// 000000003438: 104C66FA FF015010
	v_mul_u32_u24_dpp v39, v16, v51 row_newbcast:4 row_mask:0xf bank_mask:0xf// 000000003440: 104E66FA FF015410
	v_mul_u32_u24_dpp v40, v16, v51 row_newbcast:8 row_mask:0xf bank_mask:0xf// 000000003448: 105066FA FF015810
	v_mul_u32_u24_dpp v41, v16, v51 row_newbcast:12 row_mask:0xf bank_mask:0xf// 000000003450: 105266FA FF015C10
	v_add_u32_e32 v22, v38, v6                                 // 000000003458: 682C0D26
	v_add_u32_e32 v23, v39, v6                                 // 00000000345C: 682E0D27
	v_add_u32_e32 v24, v40, v6                                 // 000000003460: 68300D28
	v_add_u32_e32 v25, v41, v6                                 // 000000003464: 68320D29
	v_mul_u32_u24_dpp v38, v16, v61 quad_perm:[0,0,0,0] row_mask:0xf bank_mask:0xf// 000000003468: 104C7AFA FF000010
	v_add_u32_e32 v2, v38, v57                                 // 000000003470: 68047326
	v_mul_u32_u24_dpp v38, v16, v61 quad_perm:[0,0,0,0] row_mask:0xf bank_mask:0xf// 000000003474: 104C7AFA FF000010
	v_add_u32_e32 v53, v38, v58                                // 00000000347C: 686A7526
	v_mfma_f32_16x16x32_fp8_fp8 v[88:91], v[160:161], v[80:81], 0// 000000003480: D3F30058 0202A1A0
	v_mfma_f32_16x16x32_fp8_fp8 v[88:91], v[162:163], v[82:83], v[88:91]// 000000003488: D3F30058 0562A5A2
	buffer_load_dwordx4 v[128:131], v22, s[16:19], 0 offen     // 000000003490: E05C1000 80048016
	v_mfma_f32_16x16x32_fp8_fp8 v[88:91], v[164:165], v[84:85], v[88:91]// 000000003498: D3F30058 0562A9A4
	v_mfma_f32_16x16x32_fp8_fp8 v[88:91], v[166:167], v[86:87], v[88:91]// 0000000034A0: D3F30058 0562ADA6
	buffer_load_dword v17, v1, s[24:27], 0 offen               // 0000000034A8: E0501000 80061101
	v_mfma_f32_16x16x32_fp8_fp8 v[92:95], v[168:169], v[80:81], 0// 0000000034B0: D3F3005C 0202A1A8
	v_mfma_f32_16x16x32_fp8_fp8 v[92:95], v[170:171], v[82:83], v[92:95]// 0000000034B8: D3F3005C 0572A5AA
	buffer_load_dwordx4 v[132:135], v22, s[16:19], 0 offen offset:1024// 0000000034C0: E05C1400 80048416
	v_mfma_f32_16x16x32_fp8_fp8 v[92:95], v[172:173], v[84:85], v[92:95]// 0000000034C8: D3F3005C 0572A9AC
	v_mfma_f32_16x16x32_fp8_fp8 v[92:95], v[174:175], v[86:87], v[92:95]// 0000000034D0: D3F3005C 0572ADAE
	v_mfma_f32_16x16x32_fp8_fp8 v[96:99], v[176:177], v[80:81], 0// 0000000034D8: D3F30060 0202A1B0
	v_mfma_f32_16x16x32_fp8_fp8 v[96:99], v[178:179], v[82:83], v[96:99]// 0000000034E0: D3F30060 0582A5B2
	buffer_load_dwordx4 v[136:139], v23, s[16:19], 0 offen     // 0000000034E8: E05C1000 80048817
	v_mfma_f32_16x16x32_fp8_fp8 v[96:99], v[180:181], v[84:85], v[96:99]// 0000000034F0: D3F30060 0582A9B4
	v_mfma_f32_16x16x32_fp8_fp8 v[96:99], v[182:183], v[86:87], v[96:99]// 0000000034F8: D3F30060 0582ADB6
	v_mfma_f32_16x16x32_fp8_fp8 v[100:103], v[184:185], v[80:81], 0// 000000003500: D3F30064 0202A1B8
	v_mfma_f32_16x16x32_fp8_fp8 v[100:103], v[186:187], v[82:83], v[100:103]// 000000003508: D3F30064 0592A5BA
	buffer_load_dwordx4 v[140:143], v23, s[16:19], 0 offen offset:1024// 000000003510: E05C1400 80048C17
	v_mfma_f32_16x16x32_fp8_fp8 v[100:103], v[188:189], v[84:85], v[100:103]// 000000003518: D3F30064 0592A9BC
	v_mfma_f32_16x16x32_fp8_fp8 v[100:103], v[190:191], v[86:87], v[100:103]// 000000003520: D3F30064 0592ADBE
	buffer_load_dword v44, v2, s[32:35], 0 offen               // 000000003528: E0501000 80082C02
	v_mov_b32_dpp v38, v45 row_shr:4 row_mask:0xf bank_mask:0xf// 000000003530: 7E4C02FA FF01142D
	v_mov_b32_dpp v39, v45 row_shl:4 row_mask:0xf bank_mask:0xf// 000000003538: 7E4E02FA FF01042D
	v_cndmask_b32_e64 v124, v45, v38, s[44:45]                 // 000000003540: D100007C 00B24D2D
	v_cndmask_b32_e64 v125, v39, v45, s[44:45]                 // 000000003548: D100007D 00B25B27
	v_mov_b32_dpp v38, v56 row_shr:4 row_mask:0xf bank_mask:0xf// 000000003550: 7E4C02FA FF011438
	v_mov_b32_dpp v39, v56 row_shl:4 row_mask:0xf bank_mask:0xf// 000000003558: 7E4E02FA FF010438
	v_cndmask_b32_e64 v126, v56, v38, s[44:45]                 // 000000003560: D100007E 00B24D38
	v_cndmask_b32_e64 v127, v39, v56, s[44:45]                 // 000000003568: D100007F 00B27127
	v_or_b32_dpp v88, v96, v88 row_shr:8 row_mask:0xf bank_mask:0xf bound_ctrl:1// 000000003570: 28B0B0FA FF091860
	v_or_b32_dpp v89, v97, v89 row_shr:8 row_mask:0xf bank_mask:0xf bound_ctrl:1// 000000003578: 28B2B2FA FF091861
	v_or_b32_dpp v90, v98, v90 row_shr:8 row_mask:0xf bank_mask:0xf bound_ctrl:1// 000000003580: 28B4B4FA FF091862
	v_or_b32_dpp v91, v99, v91 row_shr:8 row_mask:0xf bank_mask:0xf bound_ctrl:1// 000000003588: 28B6B6FA FF091863
	v_or_b32_dpp v92, v100, v92 row_shr:8 row_mask:0xf bank_mask:0xf bound_ctrl:1// 000000003590: 28B8B8FA FF091864
	v_or_b32_dpp v93, v101, v93 row_shr:8 row_mask:0xf bank_mask:0xf bound_ctrl:1// 000000003598: 28BABAFA FF091865
	v_or_b32_dpp v94, v102, v94 row_shr:8 row_mask:0xf bank_mask:0xf bound_ctrl:1// 0000000035A0: 28BCBCFA FF091866
	v_or_b32_dpp v95, v103, v95 row_shr:8 row_mask:0xf bank_mask:0xf bound_ctrl:1// 0000000035A8: 28BEBEFA FF091867
	buffer_load_dword v55, v53, s[36:39], 0 offen              // 0000000035B0: E0501000 80093735
	v_mul_f32_e32 v88, v46, v88                                // 0000000035B8: 0AB0B12E
	v_mul_f32_e32 v89, v46, v89                                // 0000000035BC: 0AB2B32E
	v_mul_f32_e32 v90, v46, v90                                // 0000000035C0: 0AB4B52E
	v_mul_f32_e32 v91, v46, v91                                // 0000000035C4: 0AB6B72E
	v_mul_f32_e32 v92, v46, v92                                // 0000000035C8: 0AB8B92E
	v_mul_f32_e32 v93, v46, v93                                // 0000000035CC: 0ABABB2E
	v_mul_f32_e32 v94, v46, v94                                // 0000000035D0: 0ABCBD2E
	v_mul_f32_e32 v95, v46, v95                                // 0000000035D4: 0ABEBF2E
	buffer_load_dwordx4 v[144:147], v24, s[16:19], 0 offen     // 0000000035D8: E05C1000 80049018
	v_mul_f32_dpp v88, v124, v88 quad_perm:[0,0,0,0] row_mask:0xf bank_mask:0xf// 0000000035E0: 0AB0B0FA FF00007C
	v_mul_f32_dpp v89, v124, v89 quad_perm:[1,1,1,1] row_mask:0xf bank_mask:0xf// 0000000035E8: 0AB2B2FA FF00557C
	v_mul_f32_dpp v90, v124, v90 quad_perm:[2,2,2,2] row_mask:0xf bank_mask:0xf// 0000000035F0: 0AB4B4FA FF00AA7C
	v_mul_f32_dpp v91, v124, v91 quad_perm:[3,3,3,3] row_mask:0xf bank_mask:0xf// 0000000035F8: 0AB6B6FA FF00FF7C
	v_mul_f32_dpp v92, v125, v92 quad_perm:[0,0,0,0] row_mask:0xf bank_mask:0xf// 000000003600: 0AB8B8FA FF00007D
	v_mul_f32_dpp v93, v125, v93 quad_perm:[1,1,1,1] row_mask:0xf bank_mask:0xf// 000000003608: 0ABABAFA FF00557D
	v_mul_f32_dpp v94, v125, v94 quad_perm:[2,2,2,2] row_mask:0xf bank_mask:0xf// 000000003610: 0ABCBCFA FF00AA7D
	v_mul_f32_dpp v95, v125, v95 quad_perm:[3,3,3,3] row_mask:0xf bank_mask:0xf// 000000003618: 0ABEBEFA FF00FF7D
	buffer_load_dwordx4 v[148:151], v24, s[16:19], 0 offen offset:1024// 000000003620: E05C1400 80049418
	v_mov_b32_e32 v48, v88                                     // 000000003628: 7E600358
	v_max3_f32 v48, v88, v89, v48                              // 00000000362C: D1D30030 04C2B358
	v_max3_f32 v48, v90, v91, v48                              // 000000003634: D1D30030 04C2B75A
	v_max3_f32 v48, v92, v93, v48                              // 00000000363C: D1D30030 04C2BB5C
	v_max3_f32 v48, v94, v95, v48                              // 000000003644: D1D30030 04C2BF5E
	ds_write_b32 v11, v48 offset:4224                          // 00000000364C: D81A1080 0000300B
	buffer_load_dwordx4 v[152:155], v25, s[16:19], 0 offen     // 000000003654: E05C1000 80049819
	v_mul_u32_u24_dpp v38, v16, v51 row_newbcast:1 row_mask:0xf bank_mask:0xf// 00000000365C: 104C66FA FF015110
	v_mul_u32_u24_dpp v39, v16, v51 row_newbcast:5 row_mask:0xf bank_mask:0xf// 000000003664: 104E66FA FF015510
	v_mul_u32_u24_dpp v40, v16, v51 row_newbcast:9 row_mask:0xf bank_mask:0xf// 00000000366C: 105066FA FF015910
	v_mul_u32_u24_dpp v41, v16, v51 row_newbcast:13 row_mask:0xf bank_mask:0xf// 000000003674: 105266FA FF015D10
	v_add_u32_e32 v30, v38, v7                                 // 00000000367C: 683C0F26
	v_add_u32_e32 v31, v39, v7                                 // 000000003680: 683E0F27
	v_add_u32_e32 v32, v40, v7                                 // 000000003684: 68400F28
	v_add_u32_e32 v33, v41, v7                                 // 000000003688: 68420F29
	s_waitcnt lgkmcnt(0)                                       // 00000000368C: BF8CC07F
	s_barrier                                                  // 000000003690: BF8A0000
	ds_read_b32 v64, v10 offset:4224                           // 000000003694: D86C1080 4000000A
	ds_read_b32 v65, v10 offset:4288                           // 00000000369C: D86C10C0 4100000A
	ds_read_b32 v66, v10 offset:4352                           // 0000000036A4: D86C1100 4200000A
	ds_read_b32 v67, v10 offset:4416                           // 0000000036AC: D86C1140 4300000A
	ds_read_b32 v68, v10 offset:4480                           // 0000000036B4: D86C1180 4400000A
	ds_read_b32 v69, v10 offset:4544                           // 0000000036BC: D86C11C0 4500000A
	ds_read_b32 v70, v10 offset:4608                           // 0000000036C4: D86C1200 4600000A
	ds_read_b32 v71, v10 offset:4672                           // 0000000036CC: D86C1240 4700000A
	ds_read_b32 v72, v10 offset:4736                           // 0000000036D4: D86C1280 4800000A
	ds_read_b32 v73, v10 offset:4800                           // 0000000036DC: D86C12C0 4900000A
	ds_read_b32 v74, v10 offset:4864                           // 0000000036E4: D86C1300 4A00000A
	ds_read_b32 v75, v10 offset:4928                           // 0000000036EC: D86C1340 4B00000A
	ds_read_b32 v76, v10 offset:4992                           // 0000000036F4: D86C1380 4C00000A
	ds_read_b32 v77, v10 offset:5056                           // 0000000036FC: D86C13C0 4D00000A
	ds_read_b32 v78, v10 offset:5120                           // 000000003704: D86C1400 4E00000A
	ds_read_b32 v79, v10 offset:5184                           // 00000000370C: D86C1440 4F00000A
	buffer_load_dwordx4 v[156:159], v25, s[16:19], 0 offen offset:1024// 000000003714: E05C1400 80049C19
	v_mul_f32_e32 v112, v49, v112                              // 00000000371C: 0AE0E131
	v_mul_f32_e32 v113, v49, v113                              // 000000003720: 0AE2E331
	v_mul_f32_e32 v114, v49, v114                              // 000000003724: 0AE4E531
	v_mul_f32_e32 v115, v49, v115                              // 000000003728: 0AE6E731
	v_or_b32_dpp v104, v108, v104 row_shr:8 row_mask:0xf bank_mask:0xf bound_ctrl:1// 00000000372C: 28D0D0FA FF09186C
	v_or_b32_dpp v105, v109, v105 row_shr:8 row_mask:0xf bank_mask:0xf bound_ctrl:1// 000000003734: 28D2D2FA FF09186D
	v_or_b32_dpp v106, v110, v106 row_shr:8 row_mask:0xf bank_mask:0xf bound_ctrl:1// 00000000373C: 28D4D4FA FF09186E
	v_or_b32_dpp v107, v111, v107 row_shr:8 row_mask:0xf bank_mask:0xf bound_ctrl:1// 000000003744: 28D6D6FA FF09186F
	s_waitcnt lgkmcnt(0)                                       // 00000000374C: BF8CC07F
	v_max3_f32 v48, v64, v65, v48                              // 000000003750: D1D30030 04C28340
	v_max3_f32 v48, v66, v67, v48                              // 000000003758: D1D30030 04C28742
	v_max3_f32 v48, v68, v69, v48                              // 000000003760: D1D30030 04C28B44
	v_max3_f32 v48, v70, v71, v48                              // 000000003768: D1D30030 04C28F46
	v_max3_f32 v48, v72, v73, v48                              // 000000003770: D1D30030 04C29348
	v_max3_f32 v48, v74, v75, v48                              // 000000003778: D1D30030 04C2974A
	v_max3_f32 v48, v76, v77, v48                              // 000000003780: D1D30030 04C29B4C
	v_max3_f32 v48, v78, v79, v48                              // 000000003788: D1D30030 04C29F4E
	buffer_load_dwordx4 v[192:195], v30, s[20:23], 0 offen     // 000000003790: E05C1000 8005C01E
	v_cmp_eq_u32_e64 s[40:41], v52, v14                        // 000000003798: D0CA0028 00021D34
	s_nop 1                                                    // 0000000037A0: BF800001
	v_mov_b32_dpp v38, v48 row_ror:8 row_mask:0xf bank_mask:0xf// 0000000037A4: 7E4C02FA FF012830
	v_max_f32_e32 v48, v48, v38                                // 0000000037AC: 16604D30
	v_max_f32_e32 v15, v48, v14                                // 0000000037B0: 161E1D30
	v_mul_f32_e32 v50, s64, v15                                // 0000000037B4: 0A641E40
	v_fma_f32 v88, v88, s64, -v50                              // 0000000037B8: D1CB0058 84C88158
	v_fma_f32 v89, v89, s64, -v50                              // 0000000037C0: D1CB0059 84C88159
	v_fma_f32 v90, v90, s64, -v50                              // 0000000037C8: D1CB005A 84C8815A
	v_fma_f32 v91, v91, s64, -v50                              // 0000000037D0: D1CB005B 84C8815B
	v_fma_f32 v92, v92, s64, -v50                              // 0000000037D8: D1CB005C 84C8815C
	v_fma_f32 v93, v93, s64, -v50                              // 0000000037E0: D1CB005D 84C8815D
	v_fma_f32 v94, v94, s64, -v50                              // 0000000037E8: D1CB005E 84C8815E
	v_fma_f32 v95, v95, s64, -v50                              // 0000000037F0: D1CB005F 84C8815F
	buffer_load_dwordx4 v[196:199], v31, s[20:23], 0 offen     // 0000000037F8: E05C1000 8005C41F
	v_exp_f32_e32 v88, v88                                     // 000000003800: 7EB04158
	v_exp_f32_e32 v89, v89                                     // 000000003804: 7EB24159
	v_exp_f32_e32 v90, v90                                     // 000000003808: 7EB4415A
	v_exp_f32_e32 v91, v91                                     // 00000000380C: 7EB6415B
	v_exp_f32_e32 v92, v92                                     // 000000003810: 7EB8415C
	v_exp_f32_e32 v93, v93                                     // 000000003814: 7EBA415D
	v_exp_f32_e32 v94, v94                                     // 000000003818: 7EBC415E
	v_exp_f32_e32 v95, v95                                     // 00000000381C: 7EBE415F
	buffer_load_dwordx4 v[200:203], v32, s[20:23], 0 offen     // 000000003820: E05C1000 8005C820
	v_mul_f32_dpp v116, v126, v88 quad_perm:[0,0,0,0] row_mask:0xf bank_mask:0xf// 000000003828: 0AE8B0FA FF00007E
	v_mul_f32_dpp v117, v126, v89 quad_perm:[1,1,1,1] row_mask:0xf bank_mask:0xf// 000000003830: 0AEAB2FA FF00557E
	v_mul_f32_dpp v118, v126, v90 quad_perm:[2,2,2,2] row_mask:0xf bank_mask:0xf// 000000003838: 0AECB4FA FF00AA7E
	v_mul_f32_dpp v119, v126, v91 quad_perm:[3,3,3,3] row_mask:0xf bank_mask:0xf// 000000003840: 0AEEB6FA FF00FF7E
	v_mul_f32_dpp v120, v127, v92 quad_perm:[0,0,0,0] row_mask:0xf bank_mask:0xf// 000000003848: 0AF0B8FA FF00007F
	v_mul_f32_dpp v121, v127, v93 quad_perm:[1,1,1,1] row_mask:0xf bank_mask:0xf// 000000003850: 0AF2BAFA FF00557F
	v_mul_f32_dpp v122, v127, v94 quad_perm:[2,2,2,2] row_mask:0xf bank_mask:0xf// 000000003858: 0AF4BCFA FF00AA7F
	v_mul_f32_dpp v123, v127, v95 quad_perm:[3,3,3,3] row_mask:0xf bank_mask:0xf// 000000003860: 0AF6BEFA FF00FF7F
	buffer_load_dwordx4 v[204:207], v33, s[20:23], 0 offen     // 000000003868: E05C1000 8005CC21
	v_sub_f32_e32 v49, v14, v15                                // 000000003870: 04621F0E
	v_cndmask_b32_e64 v49, v49, 0, s[40:41]                    // 000000003874: D1000031 00A10131
	v_mov_b32_e32 v14, v15                                     // 00000000387C: 7E1C030F
	v_mul_f32_e32 v49, s64, v49                                // 000000003880: 0A626240
	v_exp_f32_e32 v49, v49                                     // 000000003884: 7E624131
	s_nop 2                                                    // 000000003888: BF800002
	v_mul_f32_e32 v42, v49, v42                                // 00000000388C: 0A545531
	v_mov_b32_e32 v43, v88                                     // 000000003890: 7E560358
	v_add_f32_e32 v43, v89, v43                                // 000000003894: 02565759
	v_add_f32_e32 v43, v90, v43                                // 000000003898: 0256575A
	v_add_f32_e32 v43, v91, v43                                // 00000000389C: 0256575B
	v_add_f32_e32 v43, v92, v43                                // 0000000038A0: 0256575C
	v_add_f32_e32 v43, v93, v43                                // 0000000038A4: 0256575D
	v_add_f32_e32 v43, v94, v43                                // 0000000038A8: 0256575E
	v_add_f32_e32 v43, v95, v43                                // 0000000038AC: 0256575F
	v_add_f32_e32 v42, v43, v42                                // 0000000038B0: 0254552B
	v_perm_b32 v88, v117, v116, s52                            // 0000000038B4: D1ED0058 00D2E975
	v_perm_b32 v89, v119, v118, s52                            // 0000000038BC: D1ED0059 00D2ED77
	v_perm_b32 v90, v121, v120, s52                            // 0000000038C4: D1ED005A 00D2F179
	v_perm_b32 v91, v123, v122, s52                            // 0000000038CC: D1ED005B 00D2F57B
	s_nop 2                                                    // 0000000038D4: BF800002
	v_mov_b32_dpp v38, v48 row_ror:8 row_mask:0xf bank_mask:0xf// 0000000038D8: 7E4C02FA FF012830
	v_max_f32_e32 v48, v48, v38                                // 0000000038E0: 16604D30
	ds_write_b64 v13, v[88:89] offset:6272                     // 0000000038E4: D89A1880 0000580D
	ds_write_b64 v13, v[90:91] offset:8320                     // 0000000038EC: D89A2080 00005A0D
	s_waitcnt vmcnt(19)                                        // 0000000038F4: BF8C4F73
	v_cvt_pk_f32_fp8_sdwa v[38:39], v224 src0_sel:WORD_0       // 0000000038F8: 7E4CACF9 000406E0
	v_cvt_pk_f32_fp8_sdwa v[40:41], v224 src0_sel:WORD_1       // 000000003900: 7E50ACF9 000506E0
	v_perm_b32 v160, v39, v38, s52                             // 000000003908: D1ED00A0 00D24D27
	v_perm_b32 v161, v41, v40, s52                             // 000000003910: D1ED00A1 00D25129
	v_cvt_pk_f32_fp8_sdwa v[38:39], v225 src0_sel:WORD_0       // 000000003918: 7E4CACF9 000406E1
	v_cvt_pk_f32_fp8_sdwa v[40:41], v225 src0_sel:WORD_1       // 000000003920: 7E50ACF9 000506E1
	v_perm_b32 v162, v39, v38, s52                             // 000000003928: D1ED00A2 00D24D27
	v_perm_b32 v163, v41, v40, s52                             // 000000003930: D1ED00A3 00D25129
	v_cvt_pk_f32_fp8_sdwa v[38:39], v226 src0_sel:WORD_0       // 000000003938: 7E4CACF9 000406E2
	v_cvt_pk_f32_fp8_sdwa v[40:41], v226 src0_sel:WORD_1       // 000000003940: 7E50ACF9 000506E2
	v_perm_b32 v164, v39, v38, s52                             // 000000003948: D1ED00A4 00D24D27
	v_perm_b32 v165, v41, v40, s52                             // 000000003950: D1ED00A5 00D25129
	v_cvt_pk_f32_fp8_sdwa v[38:39], v227 src0_sel:WORD_0       // 000000003958: 7E4CACF9 000406E3
	v_cvt_pk_f32_fp8_sdwa v[40:41], v227 src0_sel:WORD_1       // 000000003960: 7E50ACF9 000506E3
	v_perm_b32 v166, v39, v38, s52                             // 000000003968: D1ED00A6 00D24D27
	v_perm_b32 v167, v41, v40, s52                             // 000000003970: D1ED00A7 00D25129
	v_cvt_pk_f32_fp8_sdwa v[38:39], v228 src0_sel:WORD_0       // 000000003978: 7E4CACF9 000406E4
	v_cvt_pk_f32_fp8_sdwa v[40:41], v228 src0_sel:WORD_1       // 000000003980: 7E50ACF9 000506E4
	v_perm_b32 v168, v39, v38, s52                             // 000000003988: D1ED00A8 00D24D27
	v_perm_b32 v169, v41, v40, s52                             // 000000003990: D1ED00A9 00D25129
	v_cvt_pk_f32_fp8_sdwa v[38:39], v229 src0_sel:WORD_0       // 000000003998: 7E4CACF9 000406E5
	v_cvt_pk_f32_fp8_sdwa v[40:41], v229 src0_sel:WORD_1       // 0000000039A0: 7E50ACF9 000506E5
	v_perm_b32 v170, v39, v38, s52                             // 0000000039A8: D1ED00AA 00D24D27
	v_perm_b32 v171, v41, v40, s52                             // 0000000039B0: D1ED00AB 00D25129
	v_cvt_pk_f32_fp8_sdwa v[38:39], v230 src0_sel:WORD_0       // 0000000039B8: 7E4CACF9 000406E6
	v_cvt_pk_f32_fp8_sdwa v[40:41], v230 src0_sel:WORD_1       // 0000000039C0: 7E50ACF9 000506E6
	v_perm_b32 v172, v39, v38, s52                             // 0000000039C8: D1ED00AC 00D24D27
	v_perm_b32 v173, v41, v40, s52                             // 0000000039D0: D1ED00AD 00D25129
	v_cvt_pk_f32_fp8_sdwa v[38:39], v231 src0_sel:WORD_0       // 0000000039D8: 7E4CACF9 000406E7
	v_cvt_pk_f32_fp8_sdwa v[40:41], v231 src0_sel:WORD_1       // 0000000039E0: 7E50ACF9 000506E7
	v_perm_b32 v174, v39, v38, s52                             // 0000000039E8: D1ED00AE 00D24D27
	v_perm_b32 v175, v41, v40, s52                             // 0000000039F0: D1ED00AF 00D25129
	v_cvt_pk_f32_fp8_sdwa v[38:39], v232 src0_sel:WORD_0       // 0000000039F8: 7E4CACF9 000406E8
	v_cvt_pk_f32_fp8_sdwa v[40:41], v232 src0_sel:WORD_1       // 000000003A00: 7E50ACF9 000506E8
	v_perm_b32 v176, v39, v38, s52                             // 000000003A08: D1ED00B0 00D24D27
	v_perm_b32 v177, v41, v40, s52                             // 000000003A10: D1ED00B1 00D25129
	v_cvt_pk_f32_fp8_sdwa v[38:39], v233 src0_sel:WORD_0       // 000000003A18: 7E4CACF9 000406E9
	v_cvt_pk_f32_fp8_sdwa v[40:41], v233 src0_sel:WORD_1       // 000000003A20: 7E50ACF9 000506E9
	v_perm_b32 v178, v39, v38, s52                             // 000000003A28: D1ED00B2 00D24D27
	v_perm_b32 v179, v41, v40, s52                             // 000000003A30: D1ED00B3 00D25129
	v_cvt_pk_f32_fp8_sdwa v[38:39], v234 src0_sel:WORD_0       // 000000003A38: 7E4CACF9 000406EA
	v_cvt_pk_f32_fp8_sdwa v[40:41], v234 src0_sel:WORD_1       // 000000003A40: 7E50ACF9 000506EA
	v_perm_b32 v180, v39, v38, s52                             // 000000003A48: D1ED00B4 00D24D27
	v_perm_b32 v181, v41, v40, s52                             // 000000003A50: D1ED00B5 00D25129
	v_cvt_pk_f32_fp8_sdwa v[38:39], v235 src0_sel:WORD_0       // 000000003A58: 7E4CACF9 000406EB
	v_cvt_pk_f32_fp8_sdwa v[40:41], v235 src0_sel:WORD_1       // 000000003A60: 7E50ACF9 000506EB
	v_perm_b32 v182, v39, v38, s52                             // 000000003A68: D1ED00B6 00D24D27
	v_perm_b32 v183, v41, v40, s52                             // 000000003A70: D1ED00B7 00D25129
	v_cvt_pk_f32_fp8_sdwa v[38:39], v236 src0_sel:WORD_0       // 000000003A78: 7E4CACF9 000406EC
	v_cvt_pk_f32_fp8_sdwa v[40:41], v236 src0_sel:WORD_1       // 000000003A80: 7E50ACF9 000506EC
	v_perm_b32 v184, v39, v38, s52                             // 000000003A88: D1ED00B8 00D24D27
	v_perm_b32 v185, v41, v40, s52                             // 000000003A90: D1ED00B9 00D25129
	v_cvt_pk_f32_fp8_sdwa v[38:39], v237 src0_sel:WORD_0       // 000000003A98: 7E4CACF9 000406ED
	v_cvt_pk_f32_fp8_sdwa v[40:41], v237 src0_sel:WORD_1       // 000000003AA0: 7E50ACF9 000506ED
	v_perm_b32 v186, v39, v38, s52                             // 000000003AA8: D1ED00BA 00D24D27
	v_perm_b32 v187, v41, v40, s52                             // 000000003AB0: D1ED00BB 00D25129
	v_cvt_pk_f32_fp8_sdwa v[38:39], v238 src0_sel:WORD_0       // 000000003AB8: 7E4CACF9 000406EE
	v_cvt_pk_f32_fp8_sdwa v[40:41], v238 src0_sel:WORD_1       // 000000003AC0: 7E50ACF9 000506EE
	v_perm_b32 v188, v39, v38, s52                             // 000000003AC8: D1ED00BC 00D24D27
	v_perm_b32 v189, v41, v40, s52                             // 000000003AD0: D1ED00BD 00D25129
	v_cvt_pk_f32_fp8_sdwa v[38:39], v239 src0_sel:WORD_0       // 000000003AD8: 7E4CACF9 000406EF
	v_cvt_pk_f32_fp8_sdwa v[40:41], v239 src0_sel:WORD_1       // 000000003AE0: 7E50ACF9 000506EF
	v_perm_b32 v190, v39, v38, s52                             // 000000003AE8: D1ED00BE 00D24D27
	v_perm_b32 v191, v41, v40, s52                             // 000000003AF0: D1ED00BF 00D25129
	s_waitcnt lgkmcnt(0)                                       // 000000003AF8: BF8CC07F
	s_barrier                                                  // 000000003AFC: BF8A0000
	ds_read_b64 v[88:89], v12 offset:6272                      // 000000003B00: D8EC1880 5800000C
	ds_read_b64 v[90:91], v12 offset:6400                      // 000000003B08: D8EC1900 5A00000C
	ds_read_b64 v[92:93], v12 offset:6528                      // 000000003B10: D8EC1980 5C00000C
	ds_read_b64 v[94:95], v12 offset:6656                      // 000000003B18: D8EC1A00 5E00000C
	ds_read_b64 v[96:97], v12 offset:8320                      // 000000003B20: D8EC2080 6000000C
	ds_read_b64 v[98:99], v12 offset:8448                      // 000000003B28: D8EC2100 6200000C
	ds_read_b64 v[100:101], v12 offset:8576                    // 000000003B30: D8EC2180 6400000C
	ds_read_b64 v[102:103], v12 offset:8704                    // 000000003B38: D8EC2200 6600000C
	s_waitcnt vmcnt(15)                                        // 000000003B40: BF8C0F7F
	v_cvt_pk_f32_fp8_sdwa v[38:39], v240 src0_sel:WORD_0       // 000000003B44: 7E4CACF9 000406F0
	v_cvt_pk_f32_fp8_sdwa v[40:41], v240 src0_sel:WORD_1       // 000000003B4C: 7E50ACF9 000506F0
	v_perm_b32 v224, v39, v38, s52                             // 000000003B54: D1ED00E0 00D24D27
	v_perm_b32 v225, v41, v40, s52                             // 000000003B5C: D1ED00E1 00D25129
	v_cvt_pk_f32_fp8_sdwa v[38:39], v241 src0_sel:WORD_0       // 000000003B64: 7E4CACF9 000406F1
	v_cvt_pk_f32_fp8_sdwa v[40:41], v241 src0_sel:WORD_1       // 000000003B6C: 7E50ACF9 000506F1
	v_perm_b32 v226, v39, v38, s52                             // 000000003B74: D1ED00E2 00D24D27
	v_perm_b32 v227, v41, v40, s52                             // 000000003B7C: D1ED00E3 00D25129
	v_cvt_pk_f32_fp8_sdwa v[38:39], v242 src0_sel:WORD_0       // 000000003B84: 7E4CACF9 000406F2
	v_cvt_pk_f32_fp8_sdwa v[40:41], v242 src0_sel:WORD_1       // 000000003B8C: 7E50ACF9 000506F2
	v_perm_b32 v228, v39, v38, s52                             // 000000003B94: D1ED00E4 00D24D27
	v_perm_b32 v229, v41, v40, s52                             // 000000003B9C: D1ED00E5 00D25129
	v_cvt_pk_f32_fp8_sdwa v[38:39], v243 src0_sel:WORD_0       // 000000003BA4: 7E4CACF9 000406F3
	v_cvt_pk_f32_fp8_sdwa v[40:41], v243 src0_sel:WORD_1       // 000000003BAC: 7E50ACF9 000506F3
	v_perm_b32 v230, v39, v38, s52                             // 000000003BB4: D1ED00E6 00D24D27
	v_perm_b32 v231, v41, v40, s52                             // 000000003BBC: D1ED00E7 00D25129
	v_cvt_pk_f32_fp8_sdwa v[38:39], v244 src0_sel:WORD_0       // 000000003BC4: 7E4CACF9 000406F4
	v_cvt_pk_f32_fp8_sdwa v[40:41], v244 src0_sel:WORD_1       // 000000003BCC: 7E50ACF9 000506F4
	v_perm_b32 v232, v39, v38, s52                             // 000000003BD4: D1ED00E8 00D24D27
	v_perm_b32 v233, v41, v40, s52                             // 000000003BDC: D1ED00E9 00D25129
	v_cvt_pk_f32_fp8_sdwa v[38:39], v245 src0_sel:WORD_0       // 000000003BE4: 7E4CACF9 000406F5
	v_cvt_pk_f32_fp8_sdwa v[40:41], v245 src0_sel:WORD_1       // 000000003BEC: 7E50ACF9 000506F5
	v_perm_b32 v234, v39, v38, s52                             // 000000003BF4: D1ED00EA 00D24D27
	v_perm_b32 v235, v41, v40, s52                             // 000000003BFC: D1ED00EB 00D25129
	v_cvt_pk_f32_fp8_sdwa v[38:39], v246 src0_sel:WORD_0       // 000000003C04: 7E4CACF9 000406F6
	v_cvt_pk_f32_fp8_sdwa v[40:41], v246 src0_sel:WORD_1       // 000000003C0C: 7E50ACF9 000506F6
	v_perm_b32 v236, v39, v38, s52                             // 000000003C14: D1ED00EC 00D24D27
	v_perm_b32 v237, v41, v40, s52                             // 000000003C1C: D1ED00ED 00D25129
	v_cvt_pk_f32_fp8_sdwa v[38:39], v247 src0_sel:WORD_0       // 000000003C24: 7E4CACF9 000406F7
	v_cvt_pk_f32_fp8_sdwa v[40:41], v247 src0_sel:WORD_1       // 000000003C2C: 7E50ACF9 000506F7
	v_perm_b32 v238, v39, v38, s52                             // 000000003C34: D1ED00EE 00D24D27
	v_perm_b32 v239, v41, v40, s52                             // 000000003C3C: D1ED00EF 00D25129
	v_cvt_pk_f32_fp8_sdwa v[38:39], v248 src0_sel:WORD_0       // 000000003C44: 7E4CACF9 000406F8
	v_cvt_pk_f32_fp8_sdwa v[40:41], v248 src0_sel:WORD_1       // 000000003C4C: 7E50ACF9 000506F8
	v_perm_b32 v240, v39, v38, s52                             // 000000003C54: D1ED00F0 00D24D27
	v_perm_b32 v241, v41, v40, s52                             // 000000003C5C: D1ED00F1 00D25129
	v_cvt_pk_f32_fp8_sdwa v[38:39], v249 src0_sel:WORD_0       // 000000003C64: 7E4CACF9 000406F9
	v_cvt_pk_f32_fp8_sdwa v[40:41], v249 src0_sel:WORD_1       // 000000003C6C: 7E50ACF9 000506F9
	v_perm_b32 v242, v39, v38, s52                             // 000000003C74: D1ED00F2 00D24D27
	v_perm_b32 v243, v41, v40, s52                             // 000000003C7C: D1ED00F3 00D25129
	v_cvt_pk_f32_fp8_sdwa v[38:39], v250 src0_sel:WORD_0       // 000000003C84: 7E4CACF9 000406FA
	v_cvt_pk_f32_fp8_sdwa v[40:41], v250 src0_sel:WORD_1       // 000000003C8C: 7E50ACF9 000506FA
	v_perm_b32 v244, v39, v38, s52                             // 000000003C94: D1ED00F4 00D24D27
	v_perm_b32 v245, v41, v40, s52                             // 000000003C9C: D1ED00F5 00D25129
	v_cvt_pk_f32_fp8_sdwa v[38:39], v251 src0_sel:WORD_0       // 000000003CA4: 7E4CACF9 000406FB
	v_cvt_pk_f32_fp8_sdwa v[40:41], v251 src0_sel:WORD_1       // 000000003CAC: 7E50ACF9 000506FB
	v_perm_b32 v246, v39, v38, s52                             // 000000003CB4: D1ED00F6 00D24D27
	v_perm_b32 v247, v41, v40, s52                             // 000000003CBC: D1ED00F7 00D25129
	v_cvt_pk_f32_fp8_sdwa v[38:39], v252 src0_sel:WORD_0       // 000000003CC4: 7E4CACF9 000406FC
	v_cvt_pk_f32_fp8_sdwa v[40:41], v252 src0_sel:WORD_1       // 000000003CCC: 7E50ACF9 000506FC
	v_perm_b32 v248, v39, v38, s52                             // 000000003CD4: D1ED00F8 00D24D27
	v_perm_b32 v249, v41, v40, s52                             // 000000003CDC: D1ED00F9 00D25129
	v_cvt_pk_f32_fp8_sdwa v[38:39], v253 src0_sel:WORD_0       // 000000003CE4: 7E4CACF9 000406FD
	v_cvt_pk_f32_fp8_sdwa v[40:41], v253 src0_sel:WORD_1       // 000000003CEC: 7E50ACF9 000506FD
	v_perm_b32 v250, v39, v38, s52                             // 000000003CF4: D1ED00FA 00D24D27
	v_perm_b32 v251, v41, v40, s52                             // 000000003CFC: D1ED00FB 00D25129
	v_cvt_pk_f32_fp8_sdwa v[38:39], v254 src0_sel:WORD_0       // 000000003D04: 7E4CACF9 000406FE
	v_cvt_pk_f32_fp8_sdwa v[40:41], v254 src0_sel:WORD_1       // 000000003D0C: 7E50ACF9 000506FE
	v_perm_b32 v252, v39, v38, s52                             // 000000003D14: D1ED00FC 00D24D27
	v_perm_b32 v253, v41, v40, s52                             // 000000003D1C: D1ED00FD 00D25129
	v_cvt_pk_f32_fp8_sdwa v[38:39], v255 src0_sel:WORD_0       // 000000003D24: 7E4CACF9 000406FF
	v_cvt_pk_f32_fp8_sdwa v[40:41], v255 src0_sel:WORD_1       // 000000003D2C: 7E50ACF9 000506FF
	v_perm_b32 v254, v39, v38, s52                             // 000000003D34: D1ED00FE 00D24D27
	v_perm_b32 v255, v41, v40, s52                             // 000000003D3C: D1ED00FF 00D25129
	v_add_f32_e32 v112, v112, v104                             // 000000003D44: 02E0D170
	v_add_f32_e32 v113, v113, v105                             // 000000003D48: 02E2D371
	v_add_f32_e32 v114, v114, v106                             // 000000003D4C: 02E4D572
	v_add_f32_e32 v115, v115, v107                             // 000000003D50: 02E6D773
	s_waitcnt lgkmcnt(7)                                       // 000000003D54: BF8CC77F
	v_mov_b32_dpp v64, v88 row_shl:8 row_mask:0xf bank_mask:0xf bound_ctrl:1// 000000003D58: 7E8002FA FF090858
	v_and_b32_e32 v88, v88, v9                                 // 000000003D60: 26B01358
	v_mov_b32_dpp v65, v89 row_shl:8 row_mask:0xf bank_mask:0xf bound_ctrl:1// 000000003D64: 7E8202FA FF090859
	v_and_b32_e32 v89, v89, v9                                 // 000000003D6C: 26B21359
	s_waitcnt lgkmcnt(6)                                       // 000000003D70: BF8CC67F
	v_mov_b32_dpp v66, v90 row_shl:8 row_mask:0xf bank_mask:0xf bound_ctrl:1// 000000003D74: 7E8402FA FF09085A
	v_and_b32_e32 v90, v90, v9                                 // 000000003D7C: 26B4135A
	v_mov_b32_dpp v67, v91 row_shl:8 row_mask:0xf bank_mask:0xf bound_ctrl:1// 000000003D80: 7E8602FA FF09085B
	v_and_b32_e32 v91, v91, v9                                 // 000000003D88: 26B6135B
	s_waitcnt lgkmcnt(5)                                       // 000000003D8C: BF8CC57F
	v_mov_b32_dpp v68, v92 row_shl:8 row_mask:0xf bank_mask:0xf bound_ctrl:1// 000000003D90: 7E8802FA FF09085C
	v_and_b32_e32 v92, v92, v9                                 // 000000003D98: 26B8135C
	v_mov_b32_dpp v69, v93 row_shl:8 row_mask:0xf bank_mask:0xf bound_ctrl:1// 000000003D9C: 7E8A02FA FF09085D
	v_and_b32_e32 v93, v93, v9                                 // 000000003DA4: 26BA135D
	s_waitcnt lgkmcnt(4)                                       // 000000003DA8: BF8CC47F
	v_mov_b32_dpp v70, v94 row_shl:8 row_mask:0xf bank_mask:0xf bound_ctrl:1// 000000003DAC: 7E8C02FA FF09085E
	v_and_b32_e32 v94, v94, v9                                 // 000000003DB4: 26BC135E
	v_mov_b32_dpp v71, v95 row_shl:8 row_mask:0xf bank_mask:0xf bound_ctrl:1// 000000003DB8: 7E8E02FA FF09085F
	v_and_b32_e32 v95, v95, v9                                 // 000000003DC0: 26BE135F
	s_waitcnt lgkmcnt(3)                                       // 000000003DC4: BF8CC37F
	v_mov_b32_dpp v72, v96 row_shl:8 row_mask:0xf bank_mask:0xf bound_ctrl:1// 000000003DC8: 7E9002FA FF090860
	v_and_b32_e32 v96, v96, v9                                 // 000000003DD0: 26C01360
	v_mov_b32_dpp v73, v97 row_shl:8 row_mask:0xf bank_mask:0xf bound_ctrl:1// 000000003DD4: 7E9202FA FF090861
	v_and_b32_e32 v97, v97, v9                                 // 000000003DDC: 26C21361
	s_waitcnt lgkmcnt(2)                                       // 000000003DE0: BF8CC27F
	v_mov_b32_dpp v74, v98 row_shl:8 row_mask:0xf bank_mask:0xf bound_ctrl:1// 000000003DE4: 7E9402FA FF090862
	v_and_b32_e32 v98, v98, v9                                 // 000000003DEC: 26C41362
	v_mov_b32_dpp v75, v99 row_shl:8 row_mask:0xf bank_mask:0xf bound_ctrl:1// 000000003DF0: 7E9602FA FF090863
	v_and_b32_e32 v99, v99, v9                                 // 000000003DF8: 26C61363
	s_waitcnt lgkmcnt(1)                                       // 000000003DFC: BF8CC17F
	v_mov_b32_dpp v76, v100 row_shl:8 row_mask:0xf bank_mask:0xf bound_ctrl:1// 000000003E00: 7E9802FA FF090864
	v_and_b32_e32 v100, v100, v9                               // 000000003E08: 26C81364
	v_mov_b32_dpp v77, v101 row_shl:8 row_mask:0xf bank_mask:0xf bound_ctrl:1// 000000003E0C: 7E9A02FA FF090865
	v_and_b32_e32 v101, v101, v9                               // 000000003E14: 26CA1365
	s_waitcnt lgkmcnt(0)                                       // 000000003E18: BF8CC07F
	v_mov_b32_dpp v78, v102 row_shl:8 row_mask:0xf bank_mask:0xf bound_ctrl:1// 000000003E1C: 7E9C02FA FF090866
	v_and_b32_e32 v102, v102, v9                               // 000000003E24: 26CC1366
	v_mov_b32_dpp v79, v103 row_shl:8 row_mask:0xf bank_mask:0xf bound_ctrl:1// 000000003E28: 7E9E02FA FF090867
	v_and_b32_e32 v103, v103, v9                               // 000000003E30: 26CE1367
	s_waitcnt vmcnt(15)                                        // 000000003E34: BF8C0F7F
	v_mfma_f32_16x16x16_bf16 v[104:107], v[160:161], v[88:89], 0// 000000003E38: D3E10068 0202B1A0
	v_mfma_f32_16x16x16_bf16 v[104:107], v[162:163], v[90:91], v[104:107]// 000000003E40: D3E10068 05A2B5A2
	buffer_load_dwordx4 v[208:211], v30, s[20:23], 0 offen offset:1024// 000000003E48: E05C1400 8005D01E
	v_mfma_f32_16x16x16_bf16 v[104:107], v[164:165], v[92:93], v[104:107]// 000000003E50: D3E10068 05A2B9A4
	v_mfma_f32_16x16x16_bf16 v[104:107], v[166:167], v[94:95], v[104:107]// 000000003E58: D3E10068 05A2BDA6
	v_mfma_f32_16x16x16_bf16 v[104:107], v[168:169], v[96:97], v[104:107]// 000000003E60: D3E10068 05A2C1A8
	v_mfma_f32_16x16x16_bf16 v[104:107], v[170:171], v[98:99], v[104:107]// 000000003E68: D3E10068 05A2C5AA
	buffer_load_dwordx4 v[212:215], v31, s[20:23], 0 offen offset:1024// 000000003E70: E05C1400 8005D41F
	v_mfma_f32_16x16x16_bf16 v[104:107], v[172:173], v[100:101], v[104:107]// 000000003E78: D3E10068 05A2C9AC
	v_mfma_f32_16x16x16_bf16 v[104:107], v[174:175], v[102:103], v[104:107]// 000000003E80: D3E10068 05A2CDAE
	v_mfma_f32_16x16x16_bf16 v[104:107], v[176:177], v[64:65], v[104:107]// 000000003E88: D3E10068 05A281B0
	v_mfma_f32_16x16x16_bf16 v[104:107], v[178:179], v[66:67], v[104:107]// 000000003E90: D3E10068 05A285B2
	buffer_load_dwordx4 v[216:219], v32, s[20:23], 0 offen offset:1024// 000000003E98: E05C1400 8005D820
	v_mfma_f32_16x16x16_bf16 v[104:107], v[180:181], v[68:69], v[104:107]// 000000003EA0: D3E10068 05A289B4
	v_mfma_f32_16x16x16_bf16 v[104:107], v[182:183], v[70:71], v[104:107]// 000000003EA8: D3E10068 05A28DB6
	v_mfma_f32_16x16x16_bf16 v[104:107], v[184:185], v[72:73], v[104:107]// 000000003EB0: D3E10068 05A291B8
	v_mfma_f32_16x16x16_bf16 v[104:107], v[186:187], v[74:75], v[104:107]// 000000003EB8: D3E10068 05A295BA
	buffer_load_dwordx4 v[220:223], v33, s[20:23], 0 offen offset:1024// 000000003EC0: E05C1400 8005DC21
	v_mfma_f32_16x16x16_bf16 v[104:107], v[188:189], v[76:77], v[104:107]// 000000003EC8: D3E10068 05A299BC
	s_lshr_b32 s57, s70, 4                                     // 000000003ED0: 8F398446
	s_add_u32 s57, 48, s57                                     // 000000003ED4: 803939B0
	v_mfma_f32_16x16x16_bf16 v[104:107], v[190:191], v[78:79], v[104:107]// 000000003ED8: D3E10068 05A29DBE
	s_cmp_ge_u32 s57, s73                                      // 000000003EE0: BF094939
	s_cselect_b32 s56, 0, s56                                  // 000000003EE4: 85383880
	v_mfma_f32_16x16x16_bf16 v[108:111], v[224:225], v[88:89], 0// 000000003EE8: D3E1006C 0202B1E0
	v_mfma_f32_16x16x16_bf16 v[108:111], v[226:227], v[90:91], v[108:111]// 000000003EF0: D3E1006C 05B2B5E2
	v_mfma_f32_16x16x16_bf16 v[108:111], v[228:229], v[92:93], v[108:111]// 000000003EF8: D3E1006C 05B2B9E4
	v_mfma_f32_16x16x16_bf16 v[108:111], v[230:231], v[94:95], v[108:111]// 000000003F00: D3E1006C 05B2BDE6
	v_mfma_f32_16x16x16_bf16 v[108:111], v[232:233], v[96:97], v[108:111]// 000000003F08: D3E1006C 05B2C1E8
	v_mfma_f32_16x16x16_bf16 v[108:111], v[234:235], v[98:99], v[108:111]// 000000003F10: D3E1006C 05B2C5EA
	v_mfma_f32_16x16x16_bf16 v[108:111], v[236:237], v[100:101], v[108:111]// 000000003F18: D3E1006C 05B2C9EC
	v_mfma_f32_16x16x16_bf16 v[108:111], v[238:239], v[102:103], v[108:111]// 000000003F20: D3E1006C 05B2CDEE
	v_mfma_f32_16x16x16_bf16 v[108:111], v[240:241], v[64:65], v[108:111]// 000000003F28: D3E1006C 05B281F0
	v_mfma_f32_16x16x16_bf16 v[108:111], v[242:243], v[66:67], v[108:111]// 000000003F30: D3E1006C 05B285F2
	v_mfma_f32_16x16x16_bf16 v[108:111], v[244:245], v[68:69], v[108:111]// 000000003F38: D3E1006C 05B289F4
	v_mfma_f32_16x16x16_bf16 v[108:111], v[246:247], v[70:71], v[108:111]// 000000003F40: D3E1006C 05B28DF6
	v_mfma_f32_16x16x16_bf16 v[108:111], v[248:249], v[72:73], v[108:111]// 000000003F48: D3E1006C 05B291F8
	v_mfma_f32_16x16x16_bf16 v[108:111], v[250:251], v[74:75], v[108:111]// 000000003F50: D3E1006C 05B295FA
	v_mfma_f32_16x16x16_bf16 v[108:111], v[252:253], v[76:77], v[108:111]// 000000003F58: D3E1006C 05B299FC
	v_mfma_f32_16x16x16_bf16 v[108:111], v[254:255], v[78:79], v[108:111]// 000000003F60: D3E1006C 05B29DFE
	v_add_u32_e32 v1, s56, v1                                  // 000000003F68: 68020238
	s_addk_i32 s70, 0x100                                      // 000000003F6C: B7460100
	s_cmp_lt_i32 s70, s71                                      // 000000003F70: BF044746
	s_cbranch_scc0 label_079F                                  // 000000003F74: BF840001
	s_branch label_01FC                                        // 000000003F78: BF82FA5D

0000000000003f7c <label_079F>:
	s_nop 0                                                    // 000000003F7C: BF800000
	s_nop 0                                                    // 000000003F80: BF800000
	s_branch label_0D45                                        // 000000003F84: BF8205A3

0000000000003f88 <label_07A2>:
	s_waitcnt vmcnt(8) lgkmcnt(0)                              // 000000003F88: BF8C0078
	v_mul_u32_u24_dpp v38, v17, v51 row_newbcast:0 row_mask:0xf bank_mask:0xf// 000000003F8C: 104C66FA FF015011
	v_mul_u32_u24_dpp v39, v17, v51 row_newbcast:4 row_mask:0xf bank_mask:0xf// 000000003F94: 104E66FA FF015411
	v_mul_u32_u24_dpp v40, v17, v51 row_newbcast:8 row_mask:0xf bank_mask:0xf// 000000003F9C: 105066FA FF015811
	v_mul_u32_u24_dpp v41, v17, v51 row_newbcast:12 row_mask:0xf bank_mask:0xf// 000000003FA4: 105266FA FF015C11
	v_add_u32_e32 v26, v38, v6                                 // 000000003FAC: 68340D26
	v_add_u32_e32 v27, v39, v6                                 // 000000003FB0: 68360D27
	v_add_u32_e32 v28, v40, v6                                 // 000000003FB4: 68380D28
	v_add_u32_e32 v29, v41, v6                                 // 000000003FB8: 683A0D29
	v_mul_u32_u24_dpp v38, v17, v61 quad_perm:[0,0,0,0] row_mask:0xf bank_mask:0xf// 000000003FBC: 104C7AFA FF000011
	v_add_u32_e32 v3, v38, v57                                 // 000000003FC4: 68067326
	v_mul_u32_u24_dpp v38, v17, v61 quad_perm:[0,0,0,0] row_mask:0xf bank_mask:0xf// 000000003FC8: 104C7AFA FF000011
	v_add_u32_e32 v54, v38, v58                                // 000000003FD0: 686C7526
	v_mfma_f32_16x16x32_fp8_fp8 v[88:91], v[128:129], v[80:81], 0// 000000003FD4: D3F30058 0202A180
	buffer_load_dwordx4 v[160:163], v26, s[16:19], 0 offen     // 000000003FDC: E05C1000 8004A01A
	v_mfma_f32_16x16x32_fp8_fp8 v[88:91], v[130:131], v[82:83], v[88:91]// 000000003FE4: D3F30058 0562A582
	v_mfma_f32_16x16x32_fp8_fp8 v[88:91], v[132:133], v[84:85], v[88:91]// 000000003FEC: D3F30058 0562A984
	buffer_load_dword v16, v1, s[24:27], 0 offen               // 000000003FF4: E0501000 80061001
	v_mfma_f32_16x16x32_fp8_fp8 v[88:91], v[134:135], v[86:87], v[88:91]// 000000003FFC: D3F30058 0562AD86
	v_mfma_f32_16x16x32_fp8_fp8 v[92:95], v[136:137], v[80:81], 0// 000000004004: D3F3005C 0202A188
	buffer_load_dwordx4 v[164:167], v26, s[16:19], 0 offen offset:1024// 00000000400C: E05C1400 8004A41A
	v_mfma_f32_16x16x32_fp8_fp8 v[92:95], v[138:139], v[82:83], v[92:95]// 000000004014: D3F3005C 0572A58A
	v_mfma_f32_16x16x32_fp8_fp8 v[92:95], v[140:141], v[84:85], v[92:95]// 00000000401C: D3F3005C 0572A98C
	v_mfma_f32_16x16x32_fp8_fp8 v[92:95], v[142:143], v[86:87], v[92:95]// 000000004024: D3F3005C 0572AD8E
	v_mfma_f32_16x16x32_fp8_fp8 v[96:99], v[144:145], v[80:81], 0// 00000000402C: D3F30060 0202A190
	buffer_load_dwordx4 v[168:171], v27, s[16:19], 0 offen     // 000000004034: E05C1000 8004A81B
	v_mfma_f32_16x16x32_fp8_fp8 v[96:99], v[146:147], v[82:83], v[96:99]// 00000000403C: D3F30060 0582A592
	v_mfma_f32_16x16x32_fp8_fp8 v[96:99], v[148:149], v[84:85], v[96:99]// 000000004044: D3F30060 0582A994
	v_mfma_f32_16x16x32_fp8_fp8 v[96:99], v[150:151], v[86:87], v[96:99]// 00000000404C: D3F30060 0582AD96
	v_mfma_f32_16x16x32_fp8_fp8 v[100:103], v[152:153], v[80:81], 0// 000000004054: D3F30064 0202A198
	buffer_load_dwordx4 v[172:175], v27, s[16:19], 0 offen offset:1024// 00000000405C: E05C1400 8004AC1B
	v_mfma_f32_16x16x32_fp8_fp8 v[100:103], v[154:155], v[82:83], v[100:103]// 000000004064: D3F30064 0592A59A
	v_mfma_f32_16x16x32_fp8_fp8 v[100:103], v[156:157], v[84:85], v[100:103]// 00000000406C: D3F30064 0592A99C
	v_mfma_f32_16x16x32_fp8_fp8 v[100:103], v[158:159], v[86:87], v[100:103]// 000000004074: D3F30064 0592AD9E
	buffer_load_dword v45, v3, s[32:35], 0 offen               // 00000000407C: E0501000 80082D03
	v_mov_b32_dpp v38, v44 row_shr:4 row_mask:0xf bank_mask:0xf// 000000004084: 7E4C02FA FF01142C
	v_mov_b32_dpp v39, v44 row_shl:4 row_mask:0xf bank_mask:0xf// 00000000408C: 7E4E02FA FF01042C
	v_cndmask_b32_e64 v124, v44, v38, s[44:45]                 // 000000004094: D100007C 00B24D2C
	v_cndmask_b32_e64 v125, v39, v44, s[44:45]                 // 00000000409C: D100007D 00B25927
	v_mov_b32_dpp v38, v55 row_shr:4 row_mask:0xf bank_mask:0xf// 0000000040A4: 7E4C02FA FF011437
	v_mov_b32_dpp v39, v55 row_shl:4 row_mask:0xf bank_mask:0xf// 0000000040AC: 7E4E02FA FF010437
	v_cndmask_b32_e64 v126, v55, v38, s[44:45]                 // 0000000040B4: D100007E 00B24D37
	v_cndmask_b32_e64 v127, v39, v55, s[44:45]                 // 0000000040BC: D100007F 00B26F27
	v_or_b32_dpp v88, v96, v88 row_shr:8 row_mask:0xf bank_mask:0xf bound_ctrl:1// 0000000040C4: 28B0B0FA FF091860
	v_or_b32_dpp v89, v97, v89 row_shr:8 row_mask:0xf bank_mask:0xf bound_ctrl:1// 0000000040CC: 28B2B2FA FF091861
	v_or_b32_dpp v90, v98, v90 row_shr:8 row_mask:0xf bank_mask:0xf bound_ctrl:1// 0000000040D4: 28B4B4FA FF091862
	v_or_b32_dpp v91, v99, v91 row_shr:8 row_mask:0xf bank_mask:0xf bound_ctrl:1// 0000000040DC: 28B6B6FA FF091863
	v_or_b32_dpp v92, v100, v92 row_shr:8 row_mask:0xf bank_mask:0xf bound_ctrl:1// 0000000040E4: 28B8B8FA FF091864
	v_or_b32_dpp v93, v101, v93 row_shr:8 row_mask:0xf bank_mask:0xf bound_ctrl:1// 0000000040EC: 28BABAFA FF091865
	v_or_b32_dpp v94, v102, v94 row_shr:8 row_mask:0xf bank_mask:0xf bound_ctrl:1// 0000000040F4: 28BCBCFA FF091866
	v_or_b32_dpp v95, v103, v95 row_shr:8 row_mask:0xf bank_mask:0xf bound_ctrl:1// 0000000040FC: 28BEBEFA FF091867
	buffer_load_dword v56, v54, s[36:39], 0 offen              // 000000004104: E0501000 80093836
	v_mul_f32_e32 v88, v46, v88                                // 00000000410C: 0AB0B12E
	v_mul_f32_e32 v89, v46, v89                                // 000000004110: 0AB2B32E
	v_mul_f32_e32 v90, v46, v90                                // 000000004114: 0AB4B52E
	v_mul_f32_e32 v91, v46, v91                                // 000000004118: 0AB6B72E
	v_mul_f32_e32 v92, v46, v92                                // 00000000411C: 0AB8B92E
	v_mul_f32_e32 v93, v46, v93                                // 000000004120: 0ABABB2E
	v_mul_f32_e32 v94, v46, v94                                // 000000004124: 0ABCBD2E
	v_mul_f32_e32 v95, v46, v95                                // 000000004128: 0ABEBF2E
	buffer_load_dwordx4 v[176:179], v28, s[16:19], 0 offen     // 00000000412C: E05C1000 8004B01C
	v_mul_f32_dpp v88, v124, v88 quad_perm:[0,0,0,0] row_mask:0xf bank_mask:0xf// 000000004134: 0AB0B0FA FF00007C
	v_mul_f32_dpp v89, v124, v89 quad_perm:[1,1,1,1] row_mask:0xf bank_mask:0xf// 00000000413C: 0AB2B2FA FF00557C
	v_mul_f32_dpp v90, v124, v90 quad_perm:[2,2,2,2] row_mask:0xf bank_mask:0xf// 000000004144: 0AB4B4FA FF00AA7C
	v_mul_f32_dpp v91, v124, v91 quad_perm:[3,3,3,3] row_mask:0xf bank_mask:0xf// 00000000414C: 0AB6B6FA FF00FF7C
	v_mul_f32_dpp v92, v125, v92 quad_perm:[0,0,0,0] row_mask:0xf bank_mask:0xf// 000000004154: 0AB8B8FA FF00007D
	v_mul_f32_dpp v93, v125, v93 quad_perm:[1,1,1,1] row_mask:0xf bank_mask:0xf// 00000000415C: 0ABABAFA FF00557D
	v_mul_f32_dpp v94, v125, v94 quad_perm:[2,2,2,2] row_mask:0xf bank_mask:0xf// 000000004164: 0ABCBCFA FF00AA7D
	v_mul_f32_dpp v95, v125, v95 quad_perm:[3,3,3,3] row_mask:0xf bank_mask:0xf// 00000000416C: 0ABEBEFA FF00FF7D
	buffer_load_dwordx4 v[180:183], v28, s[16:19], 0 offen offset:1024// 000000004174: E05C1400 8004B41C
	v_mov_b32_e32 v48, v88                                     // 00000000417C: 7E600358
	v_max3_f32 v48, v88, v89, v48                              // 000000004180: D1D30030 04C2B358
	v_max3_f32 v48, v90, v91, v48                              // 000000004188: D1D30030 04C2B75A
	v_max3_f32 v48, v92, v93, v48                              // 000000004190: D1D30030 04C2BB5C
	v_max3_f32 v48, v94, v95, v48                              // 000000004198: D1D30030 04C2BF5E
	ds_write_b32 v11, v48 offset:4224                          // 0000000041A0: D81A1080 0000300B
	buffer_load_dwordx4 v[184:187], v29, s[16:19], 0 offen     // 0000000041A8: E05C1000 8004B81D
	v_mul_u32_u24_dpp v38, v17, v51 row_newbcast:1 row_mask:0xf bank_mask:0xf// 0000000041B0: 104C66FA FF015111
	v_mul_u32_u24_dpp v39, v17, v51 row_newbcast:5 row_mask:0xf bank_mask:0xf// 0000000041B8: 104E66FA FF015511
	v_mul_u32_u24_dpp v40, v17, v51 row_newbcast:9 row_mask:0xf bank_mask:0xf// 0000000041C0: 105066FA FF015911
	v_mul_u32_u24_dpp v41, v17, v51 row_newbcast:13 row_mask:0xf bank_mask:0xf// 0000000041C8: 105266FA FF015D11
	v_add_u32_e32 v34, v38, v7                                 // 0000000041D0: 68440F26
	v_add_u32_e32 v35, v39, v7                                 // 0000000041D4: 68460F27
	v_add_u32_e32 v36, v40, v7                                 // 0000000041D8: 68480F28
	v_add_u32_e32 v37, v41, v7                                 // 0000000041DC: 684A0F29
	s_waitcnt lgkmcnt(0)                                       // 0000000041E0: BF8CC07F
	s_barrier                                                  // 0000000041E4: BF8A0000
	ds_read_b32 v64, v10 offset:4224                           // 0000000041E8: D86C1080 4000000A
	ds_read_b32 v65, v10 offset:4288                           // 0000000041F0: D86C10C0 4100000A
	ds_read_b32 v66, v10 offset:4352                           // 0000000041F8: D86C1100 4200000A
	ds_read_b32 v67, v10 offset:4416                           // 000000004200: D86C1140 4300000A
	ds_read_b32 v68, v10 offset:4480                           // 000000004208: D86C1180 4400000A
	ds_read_b32 v69, v10 offset:4544                           // 000000004210: D86C11C0 4500000A
	ds_read_b32 v70, v10 offset:4608                           // 000000004218: D86C1200 4600000A
	ds_read_b32 v71, v10 offset:4672                           // 000000004220: D86C1240 4700000A
	ds_read_b32 v72, v10 offset:4736                           // 000000004228: D86C1280 4800000A
	ds_read_b32 v73, v10 offset:4800                           // 000000004230: D86C12C0 4900000A
	ds_read_b32 v74, v10 offset:4864                           // 000000004238: D86C1300 4A00000A
	ds_read_b32 v75, v10 offset:4928                           // 000000004240: D86C1340 4B00000A
	ds_read_b32 v76, v10 offset:4992                           // 000000004248: D86C1380 4C00000A
	ds_read_b32 v77, v10 offset:5056                           // 000000004250: D86C13C0 4D00000A
	ds_read_b32 v78, v10 offset:5120                           // 000000004258: D86C1400 4E00000A
	ds_read_b32 v79, v10 offset:5184                           // 000000004260: D86C1440 4F00000A
	buffer_load_dwordx4 v[188:191], v29, s[16:19], 0 offen offset:1024// 000000004268: E05C1400 8004BC1D
	v_mul_f32_e32 v112, v49, v112                              // 000000004270: 0AE0E131
	v_mul_f32_e32 v113, v49, v113                              // 000000004274: 0AE2E331
	v_mul_f32_e32 v114, v49, v114                              // 000000004278: 0AE4E531
	v_mul_f32_e32 v115, v49, v115                              // 00000000427C: 0AE6E731
	v_or_b32_dpp v104, v108, v104 row_shr:8 row_mask:0xf bank_mask:0xf bound_ctrl:1// 000000004280: 28D0D0FA FF09186C
	v_or_b32_dpp v105, v109, v105 row_shr:8 row_mask:0xf bank_mask:0xf bound_ctrl:1// 000000004288: 28D2D2FA FF09186D
	v_or_b32_dpp v106, v110, v106 row_shr:8 row_mask:0xf bank_mask:0xf bound_ctrl:1// 000000004290: 28D4D4FA FF09186E
	v_or_b32_dpp v107, v111, v107 row_shr:8 row_mask:0xf bank_mask:0xf bound_ctrl:1// 000000004298: 28D6D6FA FF09186F
	s_waitcnt lgkmcnt(0)                                       // 0000000042A0: BF8CC07F
	v_max3_f32 v48, v64, v65, v48                              // 0000000042A4: D1D30030 04C28340
	v_max3_f32 v48, v66, v67, v48                              // 0000000042AC: D1D30030 04C28742
	v_max3_f32 v48, v68, v69, v48                              // 0000000042B4: D1D30030 04C28B44
	v_max3_f32 v48, v70, v71, v48                              // 0000000042BC: D1D30030 04C28F46
	v_max3_f32 v48, v72, v73, v48                              // 0000000042C4: D1D30030 04C29348
	v_max3_f32 v48, v74, v75, v48                              // 0000000042CC: D1D30030 04C2974A
	v_max3_f32 v48, v76, v77, v48                              // 0000000042D4: D1D30030 04C29B4C
	v_max3_f32 v48, v78, v79, v48                              // 0000000042DC: D1D30030 04C29F4E
	buffer_load_dwordx4 v[224:227], v34, s[20:23], 0 offen     // 0000000042E4: E05C1000 8005E022
	v_cmp_eq_u32_e64 s[40:41], v52, v14                        // 0000000042EC: D0CA0028 00021D34
	s_nop 1                                                    // 0000000042F4: BF800001
	v_mov_b32_dpp v38, v48 row_ror:8 row_mask:0xf bank_mask:0xf// 0000000042F8: 7E4C02FA FF012830
	v_max_f32_e32 v48, v48, v38                                // 000000004300: 16604D30
	v_max_f32_e32 v15, v48, v14                                // 000000004304: 161E1D30
	v_mul_f32_e32 v50, s64, v15                                // 000000004308: 0A641E40
	v_fma_f32 v88, v88, s64, -v50                              // 00000000430C: D1CB0058 84C88158
	v_fma_f32 v89, v89, s64, -v50                              // 000000004314: D1CB0059 84C88159
	v_fma_f32 v90, v90, s64, -v50                              // 00000000431C: D1CB005A 84C8815A
	v_fma_f32 v91, v91, s64, -v50                              // 000000004324: D1CB005B 84C8815B
	v_fma_f32 v92, v92, s64, -v50                              // 00000000432C: D1CB005C 84C8815C
	v_fma_f32 v93, v93, s64, -v50                              // 000000004334: D1CB005D 84C8815D
	v_fma_f32 v94, v94, s64, -v50                              // 00000000433C: D1CB005E 84C8815E
	v_fma_f32 v95, v95, s64, -v50                              // 000000004344: D1CB005F 84C8815F
	buffer_load_dwordx4 v[228:231], v35, s[20:23], 0 offen     // 00000000434C: E05C1000 8005E423
	v_exp_f32_e32 v88, v88                                     // 000000004354: 7EB04158
	v_exp_f32_e32 v89, v89                                     // 000000004358: 7EB24159
	v_exp_f32_e32 v90, v90                                     // 00000000435C: 7EB4415A
	v_exp_f32_e32 v91, v91                                     // 000000004360: 7EB6415B
	v_exp_f32_e32 v92, v92                                     // 000000004364: 7EB8415C
	v_exp_f32_e32 v93, v93                                     // 000000004368: 7EBA415D
	v_exp_f32_e32 v94, v94                                     // 00000000436C: 7EBC415E
	v_exp_f32_e32 v95, v95                                     // 000000004370: 7EBE415F
	buffer_load_dwordx4 v[232:235], v36, s[20:23], 0 offen     // 000000004374: E05C1000 8005E824
	v_mul_f32_dpp v116, v126, v88 quad_perm:[0,0,0,0] row_mask:0xf bank_mask:0xf// 00000000437C: 0AE8B0FA FF00007E
	v_mul_f32_dpp v117, v126, v89 quad_perm:[1,1,1,1] row_mask:0xf bank_mask:0xf// 000000004384: 0AEAB2FA FF00557E
	v_mul_f32_dpp v118, v126, v90 quad_perm:[2,2,2,2] row_mask:0xf bank_mask:0xf// 00000000438C: 0AECB4FA FF00AA7E
	v_mul_f32_dpp v119, v126, v91 quad_perm:[3,3,3,3] row_mask:0xf bank_mask:0xf// 000000004394: 0AEEB6FA FF00FF7E
	v_mul_f32_dpp v120, v127, v92 quad_perm:[0,0,0,0] row_mask:0xf bank_mask:0xf// 00000000439C: 0AF0B8FA FF00007F
	v_mul_f32_dpp v121, v127, v93 quad_perm:[1,1,1,1] row_mask:0xf bank_mask:0xf// 0000000043A4: 0AF2BAFA FF00557F
	v_mul_f32_dpp v122, v127, v94 quad_perm:[2,2,2,2] row_mask:0xf bank_mask:0xf// 0000000043AC: 0AF4BCFA FF00AA7F
	v_mul_f32_dpp v123, v127, v95 quad_perm:[3,3,3,3] row_mask:0xf bank_mask:0xf// 0000000043B4: 0AF6BEFA FF00FF7F
	buffer_load_dwordx4 v[236:239], v37, s[20:23], 0 offen     // 0000000043BC: E05C1000 8005EC25
	v_sub_f32_e32 v49, v14, v15                                // 0000000043C4: 04621F0E
	v_cndmask_b32_e64 v49, v49, 0, s[40:41]                    // 0000000043C8: D1000031 00A10131
	v_mov_b32_e32 v14, v15                                     // 0000000043D0: 7E1C030F
	v_mul_f32_e32 v49, s64, v49                                // 0000000043D4: 0A626240
	v_exp_f32_e32 v49, v49                                     // 0000000043D8: 7E624131
	s_nop 2                                                    // 0000000043DC: BF800002
	v_mul_f32_e32 v42, v49, v42                                // 0000000043E0: 0A545531
	v_mov_b32_e32 v43, v88                                     // 0000000043E4: 7E560358
	v_add_f32_e32 v43, v89, v43                                // 0000000043E8: 02565759
	v_add_f32_e32 v43, v90, v43                                // 0000000043EC: 0256575A
	v_add_f32_e32 v43, v91, v43                                // 0000000043F0: 0256575B
	v_add_f32_e32 v43, v92, v43                                // 0000000043F4: 0256575C
	v_add_f32_e32 v43, v93, v43                                // 0000000043F8: 0256575D
	v_add_f32_e32 v43, v94, v43                                // 0000000043FC: 0256575E
	v_add_f32_e32 v43, v95, v43                                // 000000004400: 0256575F
	v_add_f32_e32 v42, v43, v42                                // 000000004404: 0254552B
	v_perm_b32 v88, v117, v116, s52                            // 000000004408: D1ED0058 00D2E975
	v_perm_b32 v89, v119, v118, s52                            // 000000004410: D1ED0059 00D2ED77
	v_perm_b32 v90, v121, v120, s52                            // 000000004418: D1ED005A 00D2F179
	v_perm_b32 v91, v123, v122, s52                            // 000000004420: D1ED005B 00D2F57B
	s_nop 2                                                    // 000000004428: BF800002
	v_mov_b32_dpp v38, v48 row_ror:8 row_mask:0xf bank_mask:0xf// 00000000442C: 7E4C02FA FF012830
	v_max_f32_e32 v48, v48, v38                                // 000000004434: 16604D30
	ds_write_b64 v13, v[88:89] offset:6272                     // 000000004438: D89A1880 0000580D
	ds_write_b64 v13, v[90:91] offset:8320                     // 000000004440: D89A2080 00005A0D
	s_waitcnt vmcnt(19)                                        // 000000004448: BF8C4F73
	v_cvt_pk_f32_fp8_sdwa v[38:39], v192 src0_sel:WORD_0       // 00000000444C: 7E4CACF9 000406C0
	v_cvt_pk_f32_fp8_sdwa v[40:41], v192 src0_sel:WORD_1       // 000000004454: 7E50ACF9 000506C0
	v_perm_b32 v128, v39, v38, s52                             // 00000000445C: D1ED0080 00D24D27
	v_perm_b32 v129, v41, v40, s52                             // 000000004464: D1ED0081 00D25129
	v_cvt_pk_f32_fp8_sdwa v[38:39], v193 src0_sel:WORD_0       // 00000000446C: 7E4CACF9 000406C1
	v_cvt_pk_f32_fp8_sdwa v[40:41], v193 src0_sel:WORD_1       // 000000004474: 7E50ACF9 000506C1
	v_perm_b32 v130, v39, v38, s52                             // 00000000447C: D1ED0082 00D24D27
	v_perm_b32 v131, v41, v40, s52                             // 000000004484: D1ED0083 00D25129
	v_cvt_pk_f32_fp8_sdwa v[38:39], v194 src0_sel:WORD_0       // 00000000448C: 7E4CACF9 000406C2
	v_cvt_pk_f32_fp8_sdwa v[40:41], v194 src0_sel:WORD_1       // 000000004494: 7E50ACF9 000506C2
	v_perm_b32 v132, v39, v38, s52                             // 00000000449C: D1ED0084 00D24D27
	v_perm_b32 v133, v41, v40, s52                             // 0000000044A4: D1ED0085 00D25129
	v_cvt_pk_f32_fp8_sdwa v[38:39], v195 src0_sel:WORD_0       // 0000000044AC: 7E4CACF9 000406C3
	v_cvt_pk_f32_fp8_sdwa v[40:41], v195 src0_sel:WORD_1       // 0000000044B4: 7E50ACF9 000506C3
	v_perm_b32 v134, v39, v38, s52                             // 0000000044BC: D1ED0086 00D24D27
	v_perm_b32 v135, v41, v40, s52                             // 0000000044C4: D1ED0087 00D25129
	v_cvt_pk_f32_fp8_sdwa v[38:39], v196 src0_sel:WORD_0       // 0000000044CC: 7E4CACF9 000406C4
	v_cvt_pk_f32_fp8_sdwa v[40:41], v196 src0_sel:WORD_1       // 0000000044D4: 7E50ACF9 000506C4
	v_perm_b32 v136, v39, v38, s52                             // 0000000044DC: D1ED0088 00D24D27
	v_perm_b32 v137, v41, v40, s52                             // 0000000044E4: D1ED0089 00D25129
	v_cvt_pk_f32_fp8_sdwa v[38:39], v197 src0_sel:WORD_0       // 0000000044EC: 7E4CACF9 000406C5
	v_cvt_pk_f32_fp8_sdwa v[40:41], v197 src0_sel:WORD_1       // 0000000044F4: 7E50ACF9 000506C5
	v_perm_b32 v138, v39, v38, s52                             // 0000000044FC: D1ED008A 00D24D27
	v_perm_b32 v139, v41, v40, s52                             // 000000004504: D1ED008B 00D25129
	v_cvt_pk_f32_fp8_sdwa v[38:39], v198 src0_sel:WORD_0       // 00000000450C: 7E4CACF9 000406C6
	v_cvt_pk_f32_fp8_sdwa v[40:41], v198 src0_sel:WORD_1       // 000000004514: 7E50ACF9 000506C6
	v_perm_b32 v140, v39, v38, s52                             // 00000000451C: D1ED008C 00D24D27
	v_perm_b32 v141, v41, v40, s52                             // 000000004524: D1ED008D 00D25129
	v_cvt_pk_f32_fp8_sdwa v[38:39], v199 src0_sel:WORD_0       // 00000000452C: 7E4CACF9 000406C7
	v_cvt_pk_f32_fp8_sdwa v[40:41], v199 src0_sel:WORD_1       // 000000004534: 7E50ACF9 000506C7
	v_perm_b32 v142, v39, v38, s52                             // 00000000453C: D1ED008E 00D24D27
	v_perm_b32 v143, v41, v40, s52                             // 000000004544: D1ED008F 00D25129
	v_cvt_pk_f32_fp8_sdwa v[38:39], v200 src0_sel:WORD_0       // 00000000454C: 7E4CACF9 000406C8
	v_cvt_pk_f32_fp8_sdwa v[40:41], v200 src0_sel:WORD_1       // 000000004554: 7E50ACF9 000506C8
	v_perm_b32 v144, v39, v38, s52                             // 00000000455C: D1ED0090 00D24D27
	v_perm_b32 v145, v41, v40, s52                             // 000000004564: D1ED0091 00D25129
	v_cvt_pk_f32_fp8_sdwa v[38:39], v201 src0_sel:WORD_0       // 00000000456C: 7E4CACF9 000406C9
	v_cvt_pk_f32_fp8_sdwa v[40:41], v201 src0_sel:WORD_1       // 000000004574: 7E50ACF9 000506C9
	v_perm_b32 v146, v39, v38, s52                             // 00000000457C: D1ED0092 00D24D27
	v_perm_b32 v147, v41, v40, s52                             // 000000004584: D1ED0093 00D25129
	v_cvt_pk_f32_fp8_sdwa v[38:39], v202 src0_sel:WORD_0       // 00000000458C: 7E4CACF9 000406CA
	v_cvt_pk_f32_fp8_sdwa v[40:41], v202 src0_sel:WORD_1       // 000000004594: 7E50ACF9 000506CA
	v_perm_b32 v148, v39, v38, s52                             // 00000000459C: D1ED0094 00D24D27
	v_perm_b32 v149, v41, v40, s52                             // 0000000045A4: D1ED0095 00D25129
	v_cvt_pk_f32_fp8_sdwa v[38:39], v203 src0_sel:WORD_0       // 0000000045AC: 7E4CACF9 000406CB
	v_cvt_pk_f32_fp8_sdwa v[40:41], v203 src0_sel:WORD_1       // 0000000045B4: 7E50ACF9 000506CB
	v_perm_b32 v150, v39, v38, s52                             // 0000000045BC: D1ED0096 00D24D27
	v_perm_b32 v151, v41, v40, s52                             // 0000000045C4: D1ED0097 00D25129
	v_cvt_pk_f32_fp8_sdwa v[38:39], v204 src0_sel:WORD_0       // 0000000045CC: 7E4CACF9 000406CC
	v_cvt_pk_f32_fp8_sdwa v[40:41], v204 src0_sel:WORD_1       // 0000000045D4: 7E50ACF9 000506CC
	v_perm_b32 v152, v39, v38, s52                             // 0000000045DC: D1ED0098 00D24D27
	v_perm_b32 v153, v41, v40, s52                             // 0000000045E4: D1ED0099 00D25129
	v_cvt_pk_f32_fp8_sdwa v[38:39], v205 src0_sel:WORD_0       // 0000000045EC: 7E4CACF9 000406CD
	v_cvt_pk_f32_fp8_sdwa v[40:41], v205 src0_sel:WORD_1       // 0000000045F4: 7E50ACF9 000506CD
	v_perm_b32 v154, v39, v38, s52                             // 0000000045FC: D1ED009A 00D24D27
	v_perm_b32 v155, v41, v40, s52                             // 000000004604: D1ED009B 00D25129
	v_cvt_pk_f32_fp8_sdwa v[38:39], v206 src0_sel:WORD_0       // 00000000460C: 7E4CACF9 000406CE
	v_cvt_pk_f32_fp8_sdwa v[40:41], v206 src0_sel:WORD_1       // 000000004614: 7E50ACF9 000506CE
	v_perm_b32 v156, v39, v38, s52                             // 00000000461C: D1ED009C 00D24D27
	v_perm_b32 v157, v41, v40, s52                             // 000000004624: D1ED009D 00D25129
	v_cvt_pk_f32_fp8_sdwa v[38:39], v207 src0_sel:WORD_0       // 00000000462C: 7E4CACF9 000406CF
	v_cvt_pk_f32_fp8_sdwa v[40:41], v207 src0_sel:WORD_1       // 000000004634: 7E50ACF9 000506CF
	v_perm_b32 v158, v39, v38, s52                             // 00000000463C: D1ED009E 00D24D27
	v_perm_b32 v159, v41, v40, s52                             // 000000004644: D1ED009F 00D25129
	s_waitcnt lgkmcnt(0)                                       // 00000000464C: BF8CC07F
	s_barrier                                                  // 000000004650: BF8A0000
	ds_read_b64 v[88:89], v12 offset:6272                      // 000000004654: D8EC1880 5800000C
	ds_read_b64 v[90:91], v12 offset:6400                      // 00000000465C: D8EC1900 5A00000C
	ds_read_b64 v[92:93], v12 offset:6528                      // 000000004664: D8EC1980 5C00000C
	ds_read_b64 v[94:95], v12 offset:6656                      // 00000000466C: D8EC1A00 5E00000C
	ds_read_b64 v[96:97], v12 offset:8320                      // 000000004674: D8EC2080 6000000C
	ds_read_b64 v[98:99], v12 offset:8448                      // 00000000467C: D8EC2100 6200000C
	ds_read_b64 v[100:101], v12 offset:8576                    // 000000004684: D8EC2180 6400000C
	ds_read_b64 v[102:103], v12 offset:8704                    // 00000000468C: D8EC2200 6600000C
	s_waitcnt vmcnt(15)                                        // 000000004694: BF8C0F7F
	v_cvt_pk_f32_fp8_sdwa v[38:39], v208 src0_sel:WORD_0       // 000000004698: 7E4CACF9 000406D0
	v_cvt_pk_f32_fp8_sdwa v[40:41], v208 src0_sel:WORD_1       // 0000000046A0: 7E50ACF9 000506D0
	v_perm_b32 v192, v39, v38, s52                             // 0000000046A8: D1ED00C0 00D24D27
	v_perm_b32 v193, v41, v40, s52                             // 0000000046B0: D1ED00C1 00D25129
	v_cvt_pk_f32_fp8_sdwa v[38:39], v209 src0_sel:WORD_0       // 0000000046B8: 7E4CACF9 000406D1
	v_cvt_pk_f32_fp8_sdwa v[40:41], v209 src0_sel:WORD_1       // 0000000046C0: 7E50ACF9 000506D1
	v_perm_b32 v194, v39, v38, s52                             // 0000000046C8: D1ED00C2 00D24D27
	v_perm_b32 v195, v41, v40, s52                             // 0000000046D0: D1ED00C3 00D25129
	v_cvt_pk_f32_fp8_sdwa v[38:39], v210 src0_sel:WORD_0       // 0000000046D8: 7E4CACF9 000406D2
	v_cvt_pk_f32_fp8_sdwa v[40:41], v210 src0_sel:WORD_1       // 0000000046E0: 7E50ACF9 000506D2
	v_perm_b32 v196, v39, v38, s52                             // 0000000046E8: D1ED00C4 00D24D27
	v_perm_b32 v197, v41, v40, s52                             // 0000000046F0: D1ED00C5 00D25129
	v_cvt_pk_f32_fp8_sdwa v[38:39], v211 src0_sel:WORD_0       // 0000000046F8: 7E4CACF9 000406D3
	v_cvt_pk_f32_fp8_sdwa v[40:41], v211 src0_sel:WORD_1       // 000000004700: 7E50ACF9 000506D3
	v_perm_b32 v198, v39, v38, s52                             // 000000004708: D1ED00C6 00D24D27
	v_perm_b32 v199, v41, v40, s52                             // 000000004710: D1ED00C7 00D25129
	v_cvt_pk_f32_fp8_sdwa v[38:39], v212 src0_sel:WORD_0       // 000000004718: 7E4CACF9 000406D4
	v_cvt_pk_f32_fp8_sdwa v[40:41], v212 src0_sel:WORD_1       // 000000004720: 7E50ACF9 000506D4
	v_perm_b32 v200, v39, v38, s52                             // 000000004728: D1ED00C8 00D24D27
	v_perm_b32 v201, v41, v40, s52                             // 000000004730: D1ED00C9 00D25129
	v_cvt_pk_f32_fp8_sdwa v[38:39], v213 src0_sel:WORD_0       // 000000004738: 7E4CACF9 000406D5
	v_cvt_pk_f32_fp8_sdwa v[40:41], v213 src0_sel:WORD_1       // 000000004740: 7E50ACF9 000506D5
	v_perm_b32 v202, v39, v38, s52                             // 000000004748: D1ED00CA 00D24D27
	v_perm_b32 v203, v41, v40, s52                             // 000000004750: D1ED00CB 00D25129
	v_cvt_pk_f32_fp8_sdwa v[38:39], v214 src0_sel:WORD_0       // 000000004758: 7E4CACF9 000406D6
	v_cvt_pk_f32_fp8_sdwa v[40:41], v214 src0_sel:WORD_1       // 000000004760: 7E50ACF9 000506D6
	v_perm_b32 v204, v39, v38, s52                             // 000000004768: D1ED00CC 00D24D27
	v_perm_b32 v205, v41, v40, s52                             // 000000004770: D1ED00CD 00D25129
	v_cvt_pk_f32_fp8_sdwa v[38:39], v215 src0_sel:WORD_0       // 000000004778: 7E4CACF9 000406D7
	v_cvt_pk_f32_fp8_sdwa v[40:41], v215 src0_sel:WORD_1       // 000000004780: 7E50ACF9 000506D7
	v_perm_b32 v206, v39, v38, s52                             // 000000004788: D1ED00CE 00D24D27
	v_perm_b32 v207, v41, v40, s52                             // 000000004790: D1ED00CF 00D25129
	v_cvt_pk_f32_fp8_sdwa v[38:39], v216 src0_sel:WORD_0       // 000000004798: 7E4CACF9 000406D8
	v_cvt_pk_f32_fp8_sdwa v[40:41], v216 src0_sel:WORD_1       // 0000000047A0: 7E50ACF9 000506D8
	v_perm_b32 v208, v39, v38, s52                             // 0000000047A8: D1ED00D0 00D24D27
	v_perm_b32 v209, v41, v40, s52                             // 0000000047B0: D1ED00D1 00D25129
	v_cvt_pk_f32_fp8_sdwa v[38:39], v217 src0_sel:WORD_0       // 0000000047B8: 7E4CACF9 000406D9
	v_cvt_pk_f32_fp8_sdwa v[40:41], v217 src0_sel:WORD_1       // 0000000047C0: 7E50ACF9 000506D9
	v_perm_b32 v210, v39, v38, s52                             // 0000000047C8: D1ED00D2 00D24D27
	v_perm_b32 v211, v41, v40, s52                             // 0000000047D0: D1ED00D3 00D25129
	v_cvt_pk_f32_fp8_sdwa v[38:39], v218 src0_sel:WORD_0       // 0000000047D8: 7E4CACF9 000406DA
	v_cvt_pk_f32_fp8_sdwa v[40:41], v218 src0_sel:WORD_1       // 0000000047E0: 7E50ACF9 000506DA
	v_perm_b32 v212, v39, v38, s52                             // 0000000047E8: D1ED00D4 00D24D27
	v_perm_b32 v213, v41, v40, s52                             // 0000000047F0: D1ED00D5 00D25129
	v_cvt_pk_f32_fp8_sdwa v[38:39], v219 src0_sel:WORD_0       // 0000000047F8: 7E4CACF9 000406DB
	v_cvt_pk_f32_fp8_sdwa v[40:41], v219 src0_sel:WORD_1       // 000000004800: 7E50ACF9 000506DB
	v_perm_b32 v214, v39, v38, s52                             // 000000004808: D1ED00D6 00D24D27
	v_perm_b32 v215, v41, v40, s52                             // 000000004810: D1ED00D7 00D25129
	v_cvt_pk_f32_fp8_sdwa v[38:39], v220 src0_sel:WORD_0       // 000000004818: 7E4CACF9 000406DC
	v_cvt_pk_f32_fp8_sdwa v[40:41], v220 src0_sel:WORD_1       // 000000004820: 7E50ACF9 000506DC
	v_perm_b32 v216, v39, v38, s52                             // 000000004828: D1ED00D8 00D24D27
	v_perm_b32 v217, v41, v40, s52                             // 000000004830: D1ED00D9 00D25129
	v_cvt_pk_f32_fp8_sdwa v[38:39], v221 src0_sel:WORD_0       // 000000004838: 7E4CACF9 000406DD
	v_cvt_pk_f32_fp8_sdwa v[40:41], v221 src0_sel:WORD_1       // 000000004840: 7E50ACF9 000506DD
	v_perm_b32 v218, v39, v38, s52                             // 000000004848: D1ED00DA 00D24D27
	v_perm_b32 v219, v41, v40, s52                             // 000000004850: D1ED00DB 00D25129
	v_cvt_pk_f32_fp8_sdwa v[38:39], v222 src0_sel:WORD_0       // 000000004858: 7E4CACF9 000406DE
	v_cvt_pk_f32_fp8_sdwa v[40:41], v222 src0_sel:WORD_1       // 000000004860: 7E50ACF9 000506DE
	v_perm_b32 v220, v39, v38, s52                             // 000000004868: D1ED00DC 00D24D27
	v_perm_b32 v221, v41, v40, s52                             // 000000004870: D1ED00DD 00D25129
	v_cvt_pk_f32_fp8_sdwa v[38:39], v223 src0_sel:WORD_0       // 000000004878: 7E4CACF9 000406DF
	v_cvt_pk_f32_fp8_sdwa v[40:41], v223 src0_sel:WORD_1       // 000000004880: 7E50ACF9 000506DF
	v_perm_b32 v222, v39, v38, s52                             // 000000004888: D1ED00DE 00D24D27
	v_perm_b32 v223, v41, v40, s52                             // 000000004890: D1ED00DF 00D25129
	v_add_f32_e32 v112, v112, v104                             // 000000004898: 02E0D170
	v_add_f32_e32 v113, v113, v105                             // 00000000489C: 02E2D371
	v_add_f32_e32 v114, v114, v106                             // 0000000048A0: 02E4D572
	v_add_f32_e32 v115, v115, v107                             // 0000000048A4: 02E6D773
	s_waitcnt lgkmcnt(7)                                       // 0000000048A8: BF8CC77F
	v_mov_b32_dpp v64, v88 row_shl:8 row_mask:0xf bank_mask:0xf bound_ctrl:1// 0000000048AC: 7E8002FA FF090858
	v_and_b32_e32 v88, v88, v9                                 // 0000000048B4: 26B01358
	v_mov_b32_dpp v65, v89 row_shl:8 row_mask:0xf bank_mask:0xf bound_ctrl:1// 0000000048B8: 7E8202FA FF090859
	v_and_b32_e32 v89, v89, v9                                 // 0000000048C0: 26B21359
	s_waitcnt lgkmcnt(6)                                       // 0000000048C4: BF8CC67F
	v_mov_b32_dpp v66, v90 row_shl:8 row_mask:0xf bank_mask:0xf bound_ctrl:1// 0000000048C8: 7E8402FA FF09085A
	v_and_b32_e32 v90, v90, v9                                 // 0000000048D0: 26B4135A
	v_mov_b32_dpp v67, v91 row_shl:8 row_mask:0xf bank_mask:0xf bound_ctrl:1// 0000000048D4: 7E8602FA FF09085B
	v_and_b32_e32 v91, v91, v9                                 // 0000000048DC: 26B6135B
	s_waitcnt lgkmcnt(5)                                       // 0000000048E0: BF8CC57F
	v_mov_b32_dpp v68, v92 row_shl:8 row_mask:0xf bank_mask:0xf bound_ctrl:1// 0000000048E4: 7E8802FA FF09085C
	v_and_b32_e32 v92, v92, v9                                 // 0000000048EC: 26B8135C
	v_mov_b32_dpp v69, v93 row_shl:8 row_mask:0xf bank_mask:0xf bound_ctrl:1// 0000000048F0: 7E8A02FA FF09085D
	v_and_b32_e32 v93, v93, v9                                 // 0000000048F8: 26BA135D
	s_waitcnt lgkmcnt(4)                                       // 0000000048FC: BF8CC47F
	v_mov_b32_dpp v70, v94 row_shl:8 row_mask:0xf bank_mask:0xf bound_ctrl:1// 000000004900: 7E8C02FA FF09085E
	v_and_b32_e32 v94, v94, v9                                 // 000000004908: 26BC135E
	v_mov_b32_dpp v71, v95 row_shl:8 row_mask:0xf bank_mask:0xf bound_ctrl:1// 00000000490C: 7E8E02FA FF09085F
	v_and_b32_e32 v95, v95, v9                                 // 000000004914: 26BE135F
	s_waitcnt lgkmcnt(3)                                       // 000000004918: BF8CC37F
	v_mov_b32_dpp v72, v96 row_shl:8 row_mask:0xf bank_mask:0xf bound_ctrl:1// 00000000491C: 7E9002FA FF090860
	v_and_b32_e32 v96, v96, v9                                 // 000000004924: 26C01360
	v_mov_b32_dpp v73, v97 row_shl:8 row_mask:0xf bank_mask:0xf bound_ctrl:1// 000000004928: 7E9202FA FF090861
	v_and_b32_e32 v97, v97, v9                                 // 000000004930: 26C21361
	s_waitcnt lgkmcnt(2)                                       // 000000004934: BF8CC27F
	v_mov_b32_dpp v74, v98 row_shl:8 row_mask:0xf bank_mask:0xf bound_ctrl:1// 000000004938: 7E9402FA FF090862
	v_and_b32_e32 v98, v98, v9                                 // 000000004940: 26C41362
	v_mov_b32_dpp v75, v99 row_shl:8 row_mask:0xf bank_mask:0xf bound_ctrl:1// 000000004944: 7E9602FA FF090863
	v_and_b32_e32 v99, v99, v9                                 // 00000000494C: 26C61363
	s_waitcnt lgkmcnt(1)                                       // 000000004950: BF8CC17F
	v_mov_b32_dpp v76, v100 row_shl:8 row_mask:0xf bank_mask:0xf bound_ctrl:1// 000000004954: 7E9802FA FF090864
	v_and_b32_e32 v100, v100, v9                               // 00000000495C: 26C81364
	v_mov_b32_dpp v77, v101 row_shl:8 row_mask:0xf bank_mask:0xf bound_ctrl:1// 000000004960: 7E9A02FA FF090865
	v_and_b32_e32 v101, v101, v9                               // 000000004968: 26CA1365
	s_waitcnt lgkmcnt(0)                                       // 00000000496C: BF8CC07F
	v_mov_b32_dpp v78, v102 row_shl:8 row_mask:0xf bank_mask:0xf bound_ctrl:1// 000000004970: 7E9C02FA FF090866
	v_and_b32_e32 v102, v102, v9                               // 000000004978: 26CC1366
	v_mov_b32_dpp v79, v103 row_shl:8 row_mask:0xf bank_mask:0xf bound_ctrl:1// 00000000497C: 7E9E02FA FF090867
	v_and_b32_e32 v103, v103, v9                               // 000000004984: 26CE1367
	s_waitcnt vmcnt(15)                                        // 000000004988: BF8C0F7F
	v_mfma_f32_16x16x16_bf16 v[104:107], v[128:129], v[88:89], 0// 00000000498C: D3E10068 0202B180
	buffer_load_dwordx4 v[240:243], v34, s[20:23], 0 offen offset:1024// 000000004994: E05C1400 8005F022
	v_mfma_f32_16x16x16_bf16 v[104:107], v[130:131], v[90:91], v[104:107]// 00000000499C: D3E10068 05A2B582
	v_mfma_f32_16x16x16_bf16 v[104:107], v[132:133], v[92:93], v[104:107]// 0000000049A4: D3E10068 05A2B984
	v_mfma_f32_16x16x16_bf16 v[104:107], v[134:135], v[94:95], v[104:107]// 0000000049AC: D3E10068 05A2BD86
	v_mfma_f32_16x16x16_bf16 v[104:107], v[136:137], v[96:97], v[104:107]// 0000000049B4: D3E10068 05A2C188
	buffer_load_dwordx4 v[244:247], v35, s[20:23], 0 offen offset:1024// 0000000049BC: E05C1400 8005F423
	v_mfma_f32_16x16x16_bf16 v[104:107], v[138:139], v[98:99], v[104:107]// 0000000049C4: D3E10068 05A2C58A
	v_mfma_f32_16x16x16_bf16 v[104:107], v[140:141], v[100:101], v[104:107]// 0000000049CC: D3E10068 05A2C98C
	v_mfma_f32_16x16x16_bf16 v[104:107], v[142:143], v[102:103], v[104:107]// 0000000049D4: D3E10068 05A2CD8E
	v_mfma_f32_16x16x16_bf16 v[104:107], v[144:145], v[64:65], v[104:107]// 0000000049DC: D3E10068 05A28190
	buffer_load_dwordx4 v[248:251], v36, s[20:23], 0 offen offset:1024// 0000000049E4: E05C1400 8005F824
	v_mfma_f32_16x16x16_bf16 v[104:107], v[146:147], v[66:67], v[104:107]// 0000000049EC: D3E10068 05A28592
	v_mfma_f32_16x16x16_bf16 v[104:107], v[148:149], v[68:69], v[104:107]// 0000000049F4: D3E10068 05A28994
	v_mfma_f32_16x16x16_bf16 v[104:107], v[150:151], v[70:71], v[104:107]// 0000000049FC: D3E10068 05A28D96
	v_mfma_f32_16x16x16_bf16 v[104:107], v[152:153], v[72:73], v[104:107]// 000000004A04: D3E10068 05A29198
	buffer_load_dwordx4 v[252:255], v37, s[20:23], 0 offen offset:1024// 000000004A0C: E05C1400 8005FC25
	v_mfma_f32_16x16x16_bf16 v[104:107], v[154:155], v[74:75], v[104:107]// 000000004A14: D3E10068 05A2959A
	v_mfma_f32_16x16x16_bf16 v[104:107], v[156:157], v[76:77], v[104:107]// 000000004A1C: D3E10068 05A2999C
	s_lshr_b32 s57, s70, 4                                     // 000000004A24: 8F398446
	s_add_u32 s57, 48, s57                                     // 000000004A28: 803939B0
	v_mfma_f32_16x16x16_bf16 v[104:107], v[158:159], v[78:79], v[104:107]// 000000004A2C: D3E10068 05A29D9E
	s_cmp_ge_u32 s57, s73                                      // 000000004A34: BF094939
	s_cselect_b32 s56, 0, s56                                  // 000000004A38: 85383880
	v_mfma_f32_16x16x16_bf16 v[108:111], v[192:193], v[88:89], 0// 000000004A3C: D3E1006C 0202B1C0
	v_mfma_f32_16x16x16_bf16 v[108:111], v[194:195], v[90:91], v[108:111]// 000000004A44: D3E1006C 05B2B5C2
	v_mfma_f32_16x16x16_bf16 v[108:111], v[196:197], v[92:93], v[108:111]// 000000004A4C: D3E1006C 05B2B9C4
	v_mfma_f32_16x16x16_bf16 v[108:111], v[198:199], v[94:95], v[108:111]// 000000004A54: D3E1006C 05B2BDC6
	v_mfma_f32_16x16x16_bf16 v[108:111], v[200:201], v[96:97], v[108:111]// 000000004A5C: D3E1006C 05B2C1C8
	v_mfma_f32_16x16x16_bf16 v[108:111], v[202:203], v[98:99], v[108:111]// 000000004A64: D3E1006C 05B2C5CA
	v_mfma_f32_16x16x16_bf16 v[108:111], v[204:205], v[100:101], v[108:111]// 000000004A6C: D3E1006C 05B2C9CC
	v_mfma_f32_16x16x16_bf16 v[108:111], v[206:207], v[102:103], v[108:111]// 000000004A74: D3E1006C 05B2CDCE
	v_mfma_f32_16x16x16_bf16 v[108:111], v[208:209], v[64:65], v[108:111]// 000000004A7C: D3E1006C 05B281D0
	v_mfma_f32_16x16x16_bf16 v[108:111], v[210:211], v[66:67], v[108:111]// 000000004A84: D3E1006C 05B285D2
	v_mfma_f32_16x16x16_bf16 v[108:111], v[212:213], v[68:69], v[108:111]// 000000004A8C: D3E1006C 05B289D4
	v_mfma_f32_16x16x16_bf16 v[108:111], v[214:215], v[70:71], v[108:111]// 000000004A94: D3E1006C 05B28DD6
	v_mfma_f32_16x16x16_bf16 v[108:111], v[216:217], v[72:73], v[108:111]// 000000004A9C: D3E1006C 05B291D8
	v_mfma_f32_16x16x16_bf16 v[108:111], v[218:219], v[74:75], v[108:111]// 000000004AA4: D3E1006C 05B295DA
	v_mfma_f32_16x16x16_bf16 v[108:111], v[220:221], v[76:77], v[108:111]// 000000004AAC: D3E1006C 05B299DC
	v_mfma_f32_16x16x16_bf16 v[108:111], v[222:223], v[78:79], v[108:111]// 000000004AB4: D3E1006C 05B29DDE
	v_add_u32_e32 v1, s56, v1                                  // 000000004ABC: 68020238
	s_addk_i32 s70, 0x100                                      // 000000004AC0: B7460100
	s_cmp_lt_i32 s70, s71                                      // 000000004AC4: BF044746
	s_cbranch_scc0 label_079F                                  // 000000004AC8: BF84FD2C
	s_waitcnt vmcnt(8) lgkmcnt(0)                              // 000000004ACC: BF8C0078
	v_mul_u32_u24_dpp v38, v16, v51 row_newbcast:0 row_mask:0xf bank_mask:0xf// 000000004AD0: 104C66FA FF015010
	v_mul_u32_u24_dpp v39, v16, v51 row_newbcast:4 row_mask:0xf bank_mask:0xf// 000000004AD8: 104E66FA FF015410
	v_mul_u32_u24_dpp v40, v16, v51 row_newbcast:8 row_mask:0xf bank_mask:0xf// 000000004AE0: 105066FA FF015810
	v_mul_u32_u24_dpp v41, v16, v51 row_newbcast:12 row_mask:0xf bank_mask:0xf// 000000004AE8: 105266FA FF015C10
	v_add_u32_e32 v22, v38, v6                                 // 000000004AF0: 682C0D26
	v_add_u32_e32 v23, v39, v6                                 // 000000004AF4: 682E0D27
	v_add_u32_e32 v24, v40, v6                                 // 000000004AF8: 68300D28
	v_add_u32_e32 v25, v41, v6                                 // 000000004AFC: 68320D29
	v_mul_u32_u24_dpp v38, v16, v61 quad_perm:[0,0,0,0] row_mask:0xf bank_mask:0xf// 000000004B00: 104C7AFA FF000010
	v_add_u32_e32 v2, v38, v57                                 // 000000004B08: 68047326
	v_mul_u32_u24_dpp v38, v16, v61 quad_perm:[0,0,0,0] row_mask:0xf bank_mask:0xf// 000000004B0C: 104C7AFA FF000010
	v_add_u32_e32 v53, v38, v58                                // 000000004B14: 686A7526
	v_mfma_f32_16x16x32_fp8_fp8 v[88:91], v[160:161], v[80:81], 0// 000000004B18: D3F30058 0202A1A0
	buffer_load_dwordx4 v[128:131], v22, s[16:19], 0 offen     // 000000004B20: E05C1000 80048016
	v_mfma_f32_16x16x32_fp8_fp8 v[88:91], v[162:163], v[82:83], v[88:91]// 000000004B28: D3F30058 0562A5A2
	v_mfma_f32_16x16x32_fp8_fp8 v[88:91], v[164:165], v[84:85], v[88:91]// 000000004B30: D3F30058 0562A9A4
	buffer_load_dword v17, v1, s[24:27], 0 offen               // 000000004B38: E0501000 80061101
	v_mfma_f32_16x16x32_fp8_fp8 v[88:91], v[166:167], v[86:87], v[88:91]// 000000004B40: D3F30058 0562ADA6
	v_mfma_f32_16x16x32_fp8_fp8 v[92:95], v[168:169], v[80:81], 0// 000000004B48: D3F3005C 0202A1A8
	buffer_load_dwordx4 v[132:135], v22, s[16:19], 0 offen offset:1024// 000000004B50: E05C1400 80048416
	v_mfma_f32_16x16x32_fp8_fp8 v[92:95], v[170:171], v[82:83], v[92:95]// 000000004B58: D3F3005C 0572A5AA
	v_mfma_f32_16x16x32_fp8_fp8 v[92:95], v[172:173], v[84:85], v[92:95]// 000000004B60: D3F3005C 0572A9AC
	v_mfma_f32_16x16x32_fp8_fp8 v[92:95], v[174:175], v[86:87], v[92:95]// 000000004B68: D3F3005C 0572ADAE
	v_mfma_f32_16x16x32_fp8_fp8 v[96:99], v[176:177], v[80:81], 0// 000000004B70: D3F30060 0202A1B0
	buffer_load_dwordx4 v[136:139], v23, s[16:19], 0 offen     // 000000004B78: E05C1000 80048817
	v_mfma_f32_16x16x32_fp8_fp8 v[96:99], v[178:179], v[82:83], v[96:99]// 000000004B80: D3F30060 0582A5B2
	v_mfma_f32_16x16x32_fp8_fp8 v[96:99], v[180:181], v[84:85], v[96:99]// 000000004B88: D3F30060 0582A9B4
	v_mfma_f32_16x16x32_fp8_fp8 v[96:99], v[182:183], v[86:87], v[96:99]// 000000004B90: D3F30060 0582ADB6
	v_mfma_f32_16x16x32_fp8_fp8 v[100:103], v[184:185], v[80:81], 0// 000000004B98: D3F30064 0202A1B8
	buffer_load_dwordx4 v[140:143], v23, s[16:19], 0 offen offset:1024// 000000004BA0: E05C1400 80048C17
	v_mfma_f32_16x16x32_fp8_fp8 v[100:103], v[186:187], v[82:83], v[100:103]// 000000004BA8: D3F30064 0592A5BA
	v_mfma_f32_16x16x32_fp8_fp8 v[100:103], v[188:189], v[84:85], v[100:103]// 000000004BB0: D3F30064 0592A9BC
	v_mfma_f32_16x16x32_fp8_fp8 v[100:103], v[190:191], v[86:87], v[100:103]// 000000004BB8: D3F30064 0592ADBE
	buffer_load_dword v44, v2, s[32:35], 0 offen               // 000000004BC0: E0501000 80082C02
	v_mov_b32_dpp v38, v45 row_shr:4 row_mask:0xf bank_mask:0xf// 000000004BC8: 7E4C02FA FF01142D
	v_mov_b32_dpp v39, v45 row_shl:4 row_mask:0xf bank_mask:0xf// 000000004BD0: 7E4E02FA FF01042D
	v_cndmask_b32_e64 v124, v45, v38, s[44:45]                 // 000000004BD8: D100007C 00B24D2D
	v_cndmask_b32_e64 v125, v39, v45, s[44:45]                 // 000000004BE0: D100007D 00B25B27
	v_mov_b32_dpp v38, v56 row_shr:4 row_mask:0xf bank_mask:0xf// 000000004BE8: 7E4C02FA FF011438
	v_mov_b32_dpp v39, v56 row_shl:4 row_mask:0xf bank_mask:0xf// 000000004BF0: 7E4E02FA FF010438
	v_cndmask_b32_e64 v126, v56, v38, s[44:45]                 // 000000004BF8: D100007E 00B24D38
	v_cndmask_b32_e64 v127, v39, v56, s[44:45]                 // 000000004C00: D100007F 00B27127
	v_or_b32_dpp v88, v96, v88 row_shr:8 row_mask:0xf bank_mask:0xf bound_ctrl:1// 000000004C08: 28B0B0FA FF091860
	v_or_b32_dpp v89, v97, v89 row_shr:8 row_mask:0xf bank_mask:0xf bound_ctrl:1// 000000004C10: 28B2B2FA FF091861
	v_or_b32_dpp v90, v98, v90 row_shr:8 row_mask:0xf bank_mask:0xf bound_ctrl:1// 000000004C18: 28B4B4FA FF091862
	v_or_b32_dpp v91, v99, v91 row_shr:8 row_mask:0xf bank_mask:0xf bound_ctrl:1// 000000004C20: 28B6B6FA FF091863
	v_or_b32_dpp v92, v100, v92 row_shr:8 row_mask:0xf bank_mask:0xf bound_ctrl:1// 000000004C28: 28B8B8FA FF091864
	v_or_b32_dpp v93, v101, v93 row_shr:8 row_mask:0xf bank_mask:0xf bound_ctrl:1// 000000004C30: 28BABAFA FF091865
	v_or_b32_dpp v94, v102, v94 row_shr:8 row_mask:0xf bank_mask:0xf bound_ctrl:1// 000000004C38: 28BCBCFA FF091866
	v_or_b32_dpp v95, v103, v95 row_shr:8 row_mask:0xf bank_mask:0xf bound_ctrl:1// 000000004C40: 28BEBEFA FF091867
	buffer_load_dword v55, v53, s[36:39], 0 offen              // 000000004C48: E0501000 80093735
	v_mul_f32_e32 v88, v46, v88                                // 000000004C50: 0AB0B12E
	v_mul_f32_e32 v89, v46, v89                                // 000000004C54: 0AB2B32E
	v_mul_f32_e32 v90, v46, v90                                // 000000004C58: 0AB4B52E
	v_mul_f32_e32 v91, v46, v91                                // 000000004C5C: 0AB6B72E
	v_mul_f32_e32 v92, v46, v92                                // 000000004C60: 0AB8B92E
	v_mul_f32_e32 v93, v46, v93                                // 000000004C64: 0ABABB2E
	v_mul_f32_e32 v94, v46, v94                                // 000000004C68: 0ABCBD2E
	v_mul_f32_e32 v95, v46, v95                                // 000000004C6C: 0ABEBF2E
	buffer_load_dwordx4 v[144:147], v24, s[16:19], 0 offen     // 000000004C70: E05C1000 80049018
	v_mul_f32_dpp v88, v124, v88 quad_perm:[0,0,0,0] row_mask:0xf bank_mask:0xf// 000000004C78: 0AB0B0FA FF00007C
	v_mul_f32_dpp v89, v124, v89 quad_perm:[1,1,1,1] row_mask:0xf bank_mask:0xf// 000000004C80: 0AB2B2FA FF00557C
	v_mul_f32_dpp v90, v124, v90 quad_perm:[2,2,2,2] row_mask:0xf bank_mask:0xf// 000000004C88: 0AB4B4FA FF00AA7C
	v_mul_f32_dpp v91, v124, v91 quad_perm:[3,3,3,3] row_mask:0xf bank_mask:0xf// 000000004C90: 0AB6B6FA FF00FF7C
	v_mul_f32_dpp v92, v125, v92 quad_perm:[0,0,0,0] row_mask:0xf bank_mask:0xf// 000000004C98: 0AB8B8FA FF00007D
	v_mul_f32_dpp v93, v125, v93 quad_perm:[1,1,1,1] row_mask:0xf bank_mask:0xf// 000000004CA0: 0ABABAFA FF00557D
	v_mul_f32_dpp v94, v125, v94 quad_perm:[2,2,2,2] row_mask:0xf bank_mask:0xf// 000000004CA8: 0ABCBCFA FF00AA7D
	v_mul_f32_dpp v95, v125, v95 quad_perm:[3,3,3,3] row_mask:0xf bank_mask:0xf// 000000004CB0: 0ABEBEFA FF00FF7D
	buffer_load_dwordx4 v[148:151], v24, s[16:19], 0 offen offset:1024// 000000004CB8: E05C1400 80049418
	v_mov_b32_e32 v48, v88                                     // 000000004CC0: 7E600358
	v_max3_f32 v48, v88, v89, v48                              // 000000004CC4: D1D30030 04C2B358
	v_max3_f32 v48, v90, v91, v48                              // 000000004CCC: D1D30030 04C2B75A
	v_max3_f32 v48, v92, v93, v48                              // 000000004CD4: D1D30030 04C2BB5C
	v_max3_f32 v48, v94, v95, v48                              // 000000004CDC: D1D30030 04C2BF5E
	ds_write_b32 v11, v48 offset:4224                          // 000000004CE4: D81A1080 0000300B
	buffer_load_dwordx4 v[152:155], v25, s[16:19], 0 offen     // 000000004CEC: E05C1000 80049819
	v_mul_u32_u24_dpp v38, v16, v51 row_newbcast:1 row_mask:0xf bank_mask:0xf// 000000004CF4: 104C66FA FF015110
	v_mul_u32_u24_dpp v39, v16, v51 row_newbcast:5 row_mask:0xf bank_mask:0xf// 000000004CFC: 104E66FA FF015510
	v_mul_u32_u24_dpp v40, v16, v51 row_newbcast:9 row_mask:0xf bank_mask:0xf// 000000004D04: 105066FA FF015910
	v_mul_u32_u24_dpp v41, v16, v51 row_newbcast:13 row_mask:0xf bank_mask:0xf// 000000004D0C: 105266FA FF015D10
	v_add_u32_e32 v30, v38, v7                                 // 000000004D14: 683C0F26
	v_add_u32_e32 v31, v39, v7                                 // 000000004D18: 683E0F27
	v_add_u32_e32 v32, v40, v7                                 // 000000004D1C: 68400F28
	v_add_u32_e32 v33, v41, v7                                 // 000000004D20: 68420F29
	s_waitcnt lgkmcnt(0)                                       // 000000004D24: BF8CC07F
	s_barrier                                                  // 000000004D28: BF8A0000
	ds_read_b32 v64, v10 offset:4224                           // 000000004D2C: D86C1080 4000000A
	ds_read_b32 v65, v10 offset:4288                           // 000000004D34: D86C10C0 4100000A
	ds_read_b32 v66, v10 offset:4352                           // 000000004D3C: D86C1100 4200000A
	ds_read_b32 v67, v10 offset:4416                           // 000000004D44: D86C1140 4300000A
	ds_read_b32 v68, v10 offset:4480                           // 000000004D4C: D86C1180 4400000A
	ds_read_b32 v69, v10 offset:4544                           // 000000004D54: D86C11C0 4500000A
	ds_read_b32 v70, v10 offset:4608                           // 000000004D5C: D86C1200 4600000A
	ds_read_b32 v71, v10 offset:4672                           // 000000004D64: D86C1240 4700000A
	ds_read_b32 v72, v10 offset:4736                           // 000000004D6C: D86C1280 4800000A
	ds_read_b32 v73, v10 offset:4800                           // 000000004D74: D86C12C0 4900000A
	ds_read_b32 v74, v10 offset:4864                           // 000000004D7C: D86C1300 4A00000A
	ds_read_b32 v75, v10 offset:4928                           // 000000004D84: D86C1340 4B00000A
	ds_read_b32 v76, v10 offset:4992                           // 000000004D8C: D86C1380 4C00000A
	ds_read_b32 v77, v10 offset:5056                           // 000000004D94: D86C13C0 4D00000A
	ds_read_b32 v78, v10 offset:5120                           // 000000004D9C: D86C1400 4E00000A
	ds_read_b32 v79, v10 offset:5184                           // 000000004DA4: D86C1440 4F00000A
	buffer_load_dwordx4 v[156:159], v25, s[16:19], 0 offen offset:1024// 000000004DAC: E05C1400 80049C19
	v_mul_f32_e32 v112, v49, v112                              // 000000004DB4: 0AE0E131
	v_mul_f32_e32 v113, v49, v113                              // 000000004DB8: 0AE2E331
	v_mul_f32_e32 v114, v49, v114                              // 000000004DBC: 0AE4E531
	v_mul_f32_e32 v115, v49, v115                              // 000000004DC0: 0AE6E731
	v_or_b32_dpp v104, v108, v104 row_shr:8 row_mask:0xf bank_mask:0xf bound_ctrl:1// 000000004DC4: 28D0D0FA FF09186C
	v_or_b32_dpp v105, v109, v105 row_shr:8 row_mask:0xf bank_mask:0xf bound_ctrl:1// 000000004DCC: 28D2D2FA FF09186D
	v_or_b32_dpp v106, v110, v106 row_shr:8 row_mask:0xf bank_mask:0xf bound_ctrl:1// 000000004DD4: 28D4D4FA FF09186E
	v_or_b32_dpp v107, v111, v107 row_shr:8 row_mask:0xf bank_mask:0xf bound_ctrl:1// 000000004DDC: 28D6D6FA FF09186F
	s_waitcnt lgkmcnt(0)                                       // 000000004DE4: BF8CC07F
	v_max3_f32 v48, v64, v65, v48                              // 000000004DE8: D1D30030 04C28340
	v_max3_f32 v48, v66, v67, v48                              // 000000004DF0: D1D30030 04C28742
	v_max3_f32 v48, v68, v69, v48                              // 000000004DF8: D1D30030 04C28B44
	v_max3_f32 v48, v70, v71, v48                              // 000000004E00: D1D30030 04C28F46
	v_max3_f32 v48, v72, v73, v48                              // 000000004E08: D1D30030 04C29348
	v_max3_f32 v48, v74, v75, v48                              // 000000004E10: D1D30030 04C2974A
	v_max3_f32 v48, v76, v77, v48                              // 000000004E18: D1D30030 04C29B4C
	v_max3_f32 v48, v78, v79, v48                              // 000000004E20: D1D30030 04C29F4E
	buffer_load_dwordx4 v[192:195], v30, s[20:23], 0 offen     // 000000004E28: E05C1000 8005C01E
	v_cmp_eq_u32_e64 s[40:41], v52, v14                        // 000000004E30: D0CA0028 00021D34
	s_nop 1                                                    // 000000004E38: BF800001
	v_mov_b32_dpp v38, v48 row_ror:8 row_mask:0xf bank_mask:0xf// 000000004E3C: 7E4C02FA FF012830
	v_max_f32_e32 v48, v48, v38                                // 000000004E44: 16604D30
	v_max_f32_e32 v15, v48, v14                                // 000000004E48: 161E1D30
	v_mul_f32_e32 v50, s64, v15                                // 000000004E4C: 0A641E40
	v_fma_f32 v88, v88, s64, -v50                              // 000000004E50: D1CB0058 84C88158
	v_fma_f32 v89, v89, s64, -v50                              // 000000004E58: D1CB0059 84C88159
	v_fma_f32 v90, v90, s64, -v50                              // 000000004E60: D1CB005A 84C8815A
	v_fma_f32 v91, v91, s64, -v50                              // 000000004E68: D1CB005B 84C8815B
	v_fma_f32 v92, v92, s64, -v50                              // 000000004E70: D1CB005C 84C8815C
	v_fma_f32 v93, v93, s64, -v50                              // 000000004E78: D1CB005D 84C8815D
	v_fma_f32 v94, v94, s64, -v50                              // 000000004E80: D1CB005E 84C8815E
	v_fma_f32 v95, v95, s64, -v50                              // 000000004E88: D1CB005F 84C8815F
	buffer_load_dwordx4 v[196:199], v31, s[20:23], 0 offen     // 000000004E90: E05C1000 8005C41F
	v_exp_f32_e32 v88, v88                                     // 000000004E98: 7EB04158
	v_exp_f32_e32 v89, v89                                     // 000000004E9C: 7EB24159
	v_exp_f32_e32 v90, v90                                     // 000000004EA0: 7EB4415A
	v_exp_f32_e32 v91, v91                                     // 000000004EA4: 7EB6415B
	v_exp_f32_e32 v92, v92                                     // 000000004EA8: 7EB8415C
	v_exp_f32_e32 v93, v93                                     // 000000004EAC: 7EBA415D
	v_exp_f32_e32 v94, v94                                     // 000000004EB0: 7EBC415E
	v_exp_f32_e32 v95, v95                                     // 000000004EB4: 7EBE415F
	buffer_load_dwordx4 v[200:203], v32, s[20:23], 0 offen     // 000000004EB8: E05C1000 8005C820
	v_mul_f32_dpp v116, v126, v88 quad_perm:[0,0,0,0] row_mask:0xf bank_mask:0xf// 000000004EC0: 0AE8B0FA FF00007E
	v_mul_f32_dpp v117, v126, v89 quad_perm:[1,1,1,1] row_mask:0xf bank_mask:0xf// 000000004EC8: 0AEAB2FA FF00557E
	v_mul_f32_dpp v118, v126, v90 quad_perm:[2,2,2,2] row_mask:0xf bank_mask:0xf// 000000004ED0: 0AECB4FA FF00AA7E
	v_mul_f32_dpp v119, v126, v91 quad_perm:[3,3,3,3] row_mask:0xf bank_mask:0xf// 000000004ED8: 0AEEB6FA FF00FF7E
	v_mul_f32_dpp v120, v127, v92 quad_perm:[0,0,0,0] row_mask:0xf bank_mask:0xf// 000000004EE0: 0AF0B8FA FF00007F
	v_mul_f32_dpp v121, v127, v93 quad_perm:[1,1,1,1] row_mask:0xf bank_mask:0xf// 000000004EE8: 0AF2BAFA FF00557F
	v_mul_f32_dpp v122, v127, v94 quad_perm:[2,2,2,2] row_mask:0xf bank_mask:0xf// 000000004EF0: 0AF4BCFA FF00AA7F
	v_mul_f32_dpp v123, v127, v95 quad_perm:[3,3,3,3] row_mask:0xf bank_mask:0xf// 000000004EF8: 0AF6BEFA FF00FF7F
	buffer_load_dwordx4 v[204:207], v33, s[20:23], 0 offen     // 000000004F00: E05C1000 8005CC21
	v_sub_f32_e32 v49, v14, v15                                // 000000004F08: 04621F0E
	v_cndmask_b32_e64 v49, v49, 0, s[40:41]                    // 000000004F0C: D1000031 00A10131
	v_mov_b32_e32 v14, v15                                     // 000000004F14: 7E1C030F
	v_mul_f32_e32 v49, s64, v49                                // 000000004F18: 0A626240
	v_exp_f32_e32 v49, v49                                     // 000000004F1C: 7E624131
	s_nop 2                                                    // 000000004F20: BF800002
	v_mul_f32_e32 v42, v49, v42                                // 000000004F24: 0A545531
	v_mov_b32_e32 v43, v88                                     // 000000004F28: 7E560358
	v_add_f32_e32 v43, v89, v43                                // 000000004F2C: 02565759
	v_add_f32_e32 v43, v90, v43                                // 000000004F30: 0256575A
	v_add_f32_e32 v43, v91, v43                                // 000000004F34: 0256575B
	v_add_f32_e32 v43, v92, v43                                // 000000004F38: 0256575C
	v_add_f32_e32 v43, v93, v43                                // 000000004F3C: 0256575D
	v_add_f32_e32 v43, v94, v43                                // 000000004F40: 0256575E
	v_add_f32_e32 v43, v95, v43                                // 000000004F44: 0256575F
	v_add_f32_e32 v42, v43, v42                                // 000000004F48: 0254552B
	v_perm_b32 v88, v117, v116, s52                            // 000000004F4C: D1ED0058 00D2E975
	v_perm_b32 v89, v119, v118, s52                            // 000000004F54: D1ED0059 00D2ED77
	v_perm_b32 v90, v121, v120, s52                            // 000000004F5C: D1ED005A 00D2F179
	v_perm_b32 v91, v123, v122, s52                            // 000000004F64: D1ED005B 00D2F57B
	s_nop 2                                                    // 000000004F6C: BF800002
	v_mov_b32_dpp v38, v48 row_ror:8 row_mask:0xf bank_mask:0xf// 000000004F70: 7E4C02FA FF012830
	v_max_f32_e32 v48, v48, v38                                // 000000004F78: 16604D30
	ds_write_b64 v13, v[88:89] offset:6272                     // 000000004F7C: D89A1880 0000580D
	ds_write_b64 v13, v[90:91] offset:8320                     // 000000004F84: D89A2080 00005A0D
	s_waitcnt vmcnt(19)                                        // 000000004F8C: BF8C4F73
	v_cvt_pk_f32_fp8_sdwa v[38:39], v224 src0_sel:WORD_0       // 000000004F90: 7E4CACF9 000406E0
	v_cvt_pk_f32_fp8_sdwa v[40:41], v224 src0_sel:WORD_1       // 000000004F98: 7E50ACF9 000506E0
	v_perm_b32 v160, v39, v38, s52                             // 000000004FA0: D1ED00A0 00D24D27
	v_perm_b32 v161, v41, v40, s52                             // 000000004FA8: D1ED00A1 00D25129
	v_cvt_pk_f32_fp8_sdwa v[38:39], v225 src0_sel:WORD_0       // 000000004FB0: 7E4CACF9 000406E1
	v_cvt_pk_f32_fp8_sdwa v[40:41], v225 src0_sel:WORD_1       // 000000004FB8: 7E50ACF9 000506E1
	v_perm_b32 v162, v39, v38, s52                             // 000000004FC0: D1ED00A2 00D24D27
	v_perm_b32 v163, v41, v40, s52                             // 000000004FC8: D1ED00A3 00D25129
	v_cvt_pk_f32_fp8_sdwa v[38:39], v226 src0_sel:WORD_0       // 000000004FD0: 7E4CACF9 000406E2
	v_cvt_pk_f32_fp8_sdwa v[40:41], v226 src0_sel:WORD_1       // 000000004FD8: 7E50ACF9 000506E2
	v_perm_b32 v164, v39, v38, s52                             // 000000004FE0: D1ED00A4 00D24D27
	v_perm_b32 v165, v41, v40, s52                             // 000000004FE8: D1ED00A5 00D25129
	v_cvt_pk_f32_fp8_sdwa v[38:39], v227 src0_sel:WORD_0       // 000000004FF0: 7E4CACF9 000406E3
	v_cvt_pk_f32_fp8_sdwa v[40:41], v227 src0_sel:WORD_1       // 000000004FF8: 7E50ACF9 000506E3
	v_perm_b32 v166, v39, v38, s52                             // 000000005000: D1ED00A6 00D24D27
	v_perm_b32 v167, v41, v40, s52                             // 000000005008: D1ED00A7 00D25129
	v_cvt_pk_f32_fp8_sdwa v[38:39], v228 src0_sel:WORD_0       // 000000005010: 7E4CACF9 000406E4
	v_cvt_pk_f32_fp8_sdwa v[40:41], v228 src0_sel:WORD_1       // 000000005018: 7E50ACF9 000506E4
	v_perm_b32 v168, v39, v38, s52                             // 000000005020: D1ED00A8 00D24D27
	v_perm_b32 v169, v41, v40, s52                             // 000000005028: D1ED00A9 00D25129
	v_cvt_pk_f32_fp8_sdwa v[38:39], v229 src0_sel:WORD_0       // 000000005030: 7E4CACF9 000406E5
	v_cvt_pk_f32_fp8_sdwa v[40:41], v229 src0_sel:WORD_1       // 000000005038: 7E50ACF9 000506E5
	v_perm_b32 v170, v39, v38, s52                             // 000000005040: D1ED00AA 00D24D27
	v_perm_b32 v171, v41, v40, s52                             // 000000005048: D1ED00AB 00D25129
	v_cvt_pk_f32_fp8_sdwa v[38:39], v230 src0_sel:WORD_0       // 000000005050: 7E4CACF9 000406E6
	v_cvt_pk_f32_fp8_sdwa v[40:41], v230 src0_sel:WORD_1       // 000000005058: 7E50ACF9 000506E6
	v_perm_b32 v172, v39, v38, s52                             // 000000005060: D1ED00AC 00D24D27
	v_perm_b32 v173, v41, v40, s52                             // 000000005068: D1ED00AD 00D25129
	v_cvt_pk_f32_fp8_sdwa v[38:39], v231 src0_sel:WORD_0       // 000000005070: 7E4CACF9 000406E7
	v_cvt_pk_f32_fp8_sdwa v[40:41], v231 src0_sel:WORD_1       // 000000005078: 7E50ACF9 000506E7
	v_perm_b32 v174, v39, v38, s52                             // 000000005080: D1ED00AE 00D24D27
	v_perm_b32 v175, v41, v40, s52                             // 000000005088: D1ED00AF 00D25129
	v_cvt_pk_f32_fp8_sdwa v[38:39], v232 src0_sel:WORD_0       // 000000005090: 7E4CACF9 000406E8
	v_cvt_pk_f32_fp8_sdwa v[40:41], v232 src0_sel:WORD_1       // 000000005098: 7E50ACF9 000506E8
	v_perm_b32 v176, v39, v38, s52                             // 0000000050A0: D1ED00B0 00D24D27
	v_perm_b32 v177, v41, v40, s52                             // 0000000050A8: D1ED00B1 00D25129
	v_cvt_pk_f32_fp8_sdwa v[38:39], v233 src0_sel:WORD_0       // 0000000050B0: 7E4CACF9 000406E9
	v_cvt_pk_f32_fp8_sdwa v[40:41], v233 src0_sel:WORD_1       // 0000000050B8: 7E50ACF9 000506E9
	v_perm_b32 v178, v39, v38, s52                             // 0000000050C0: D1ED00B2 00D24D27
	v_perm_b32 v179, v41, v40, s52                             // 0000000050C8: D1ED00B3 00D25129
	v_cvt_pk_f32_fp8_sdwa v[38:39], v234 src0_sel:WORD_0       // 0000000050D0: 7E4CACF9 000406EA
	v_cvt_pk_f32_fp8_sdwa v[40:41], v234 src0_sel:WORD_1       // 0000000050D8: 7E50ACF9 000506EA
	v_perm_b32 v180, v39, v38, s52                             // 0000000050E0: D1ED00B4 00D24D27
	v_perm_b32 v181, v41, v40, s52                             // 0000000050E8: D1ED00B5 00D25129
	v_cvt_pk_f32_fp8_sdwa v[38:39], v235 src0_sel:WORD_0       // 0000000050F0: 7E4CACF9 000406EB
	v_cvt_pk_f32_fp8_sdwa v[40:41], v235 src0_sel:WORD_1       // 0000000050F8: 7E50ACF9 000506EB
	v_perm_b32 v182, v39, v38, s52                             // 000000005100: D1ED00B6 00D24D27
	v_perm_b32 v183, v41, v40, s52                             // 000000005108: D1ED00B7 00D25129
	v_cvt_pk_f32_fp8_sdwa v[38:39], v236 src0_sel:WORD_0       // 000000005110: 7E4CACF9 000406EC
	v_cvt_pk_f32_fp8_sdwa v[40:41], v236 src0_sel:WORD_1       // 000000005118: 7E50ACF9 000506EC
	v_perm_b32 v184, v39, v38, s52                             // 000000005120: D1ED00B8 00D24D27
	v_perm_b32 v185, v41, v40, s52                             // 000000005128: D1ED00B9 00D25129
	v_cvt_pk_f32_fp8_sdwa v[38:39], v237 src0_sel:WORD_0       // 000000005130: 7E4CACF9 000406ED
	v_cvt_pk_f32_fp8_sdwa v[40:41], v237 src0_sel:WORD_1       // 000000005138: 7E50ACF9 000506ED
	v_perm_b32 v186, v39, v38, s52                             // 000000005140: D1ED00BA 00D24D27
	v_perm_b32 v187, v41, v40, s52                             // 000000005148: D1ED00BB 00D25129
	v_cvt_pk_f32_fp8_sdwa v[38:39], v238 src0_sel:WORD_0       // 000000005150: 7E4CACF9 000406EE
	v_cvt_pk_f32_fp8_sdwa v[40:41], v238 src0_sel:WORD_1       // 000000005158: 7E50ACF9 000506EE
	v_perm_b32 v188, v39, v38, s52                             // 000000005160: D1ED00BC 00D24D27
	v_perm_b32 v189, v41, v40, s52                             // 000000005168: D1ED00BD 00D25129
	v_cvt_pk_f32_fp8_sdwa v[38:39], v239 src0_sel:WORD_0       // 000000005170: 7E4CACF9 000406EF
	v_cvt_pk_f32_fp8_sdwa v[40:41], v239 src0_sel:WORD_1       // 000000005178: 7E50ACF9 000506EF
	v_perm_b32 v190, v39, v38, s52                             // 000000005180: D1ED00BE 00D24D27
	v_perm_b32 v191, v41, v40, s52                             // 000000005188: D1ED00BF 00D25129
	s_waitcnt lgkmcnt(0)                                       // 000000005190: BF8CC07F
	s_barrier                                                  // 000000005194: BF8A0000
	ds_read_b64 v[88:89], v12 offset:6272                      // 000000005198: D8EC1880 5800000C
	ds_read_b64 v[90:91], v12 offset:6400                      // 0000000051A0: D8EC1900 5A00000C
	ds_read_b64 v[92:93], v12 offset:6528                      // 0000000051A8: D8EC1980 5C00000C
	ds_read_b64 v[94:95], v12 offset:6656                      // 0000000051B0: D8EC1A00 5E00000C
	ds_read_b64 v[96:97], v12 offset:8320                      // 0000000051B8: D8EC2080 6000000C
	ds_read_b64 v[98:99], v12 offset:8448                      // 0000000051C0: D8EC2100 6200000C
	ds_read_b64 v[100:101], v12 offset:8576                    // 0000000051C8: D8EC2180 6400000C
	ds_read_b64 v[102:103], v12 offset:8704                    // 0000000051D0: D8EC2200 6600000C
	s_waitcnt vmcnt(15)                                        // 0000000051D8: BF8C0F7F
	v_cvt_pk_f32_fp8_sdwa v[38:39], v240 src0_sel:WORD_0       // 0000000051DC: 7E4CACF9 000406F0
	v_cvt_pk_f32_fp8_sdwa v[40:41], v240 src0_sel:WORD_1       // 0000000051E4: 7E50ACF9 000506F0
	v_perm_b32 v224, v39, v38, s52                             // 0000000051EC: D1ED00E0 00D24D27
	v_perm_b32 v225, v41, v40, s52                             // 0000000051F4: D1ED00E1 00D25129
	v_cvt_pk_f32_fp8_sdwa v[38:39], v241 src0_sel:WORD_0       // 0000000051FC: 7E4CACF9 000406F1
	v_cvt_pk_f32_fp8_sdwa v[40:41], v241 src0_sel:WORD_1       // 000000005204: 7E50ACF9 000506F1
	v_perm_b32 v226, v39, v38, s52                             // 00000000520C: D1ED00E2 00D24D27
	v_perm_b32 v227, v41, v40, s52                             // 000000005214: D1ED00E3 00D25129
	v_cvt_pk_f32_fp8_sdwa v[38:39], v242 src0_sel:WORD_0       // 00000000521C: 7E4CACF9 000406F2
	v_cvt_pk_f32_fp8_sdwa v[40:41], v242 src0_sel:WORD_1       // 000000005224: 7E50ACF9 000506F2
	v_perm_b32 v228, v39, v38, s52                             // 00000000522C: D1ED00E4 00D24D27
	v_perm_b32 v229, v41, v40, s52                             // 000000005234: D1ED00E5 00D25129
	v_cvt_pk_f32_fp8_sdwa v[38:39], v243 src0_sel:WORD_0       // 00000000523C: 7E4CACF9 000406F3
	v_cvt_pk_f32_fp8_sdwa v[40:41], v243 src0_sel:WORD_1       // 000000005244: 7E50ACF9 000506F3
	v_perm_b32 v230, v39, v38, s52                             // 00000000524C: D1ED00E6 00D24D27
	v_perm_b32 v231, v41, v40, s52                             // 000000005254: D1ED00E7 00D25129
	v_cvt_pk_f32_fp8_sdwa v[38:39], v244 src0_sel:WORD_0       // 00000000525C: 7E4CACF9 000406F4
	v_cvt_pk_f32_fp8_sdwa v[40:41], v244 src0_sel:WORD_1       // 000000005264: 7E50ACF9 000506F4
	v_perm_b32 v232, v39, v38, s52                             // 00000000526C: D1ED00E8 00D24D27
	v_perm_b32 v233, v41, v40, s52                             // 000000005274: D1ED00E9 00D25129
	v_cvt_pk_f32_fp8_sdwa v[38:39], v245 src0_sel:WORD_0       // 00000000527C: 7E4CACF9 000406F5
	v_cvt_pk_f32_fp8_sdwa v[40:41], v245 src0_sel:WORD_1       // 000000005284: 7E50ACF9 000506F5
	v_perm_b32 v234, v39, v38, s52                             // 00000000528C: D1ED00EA 00D24D27
	v_perm_b32 v235, v41, v40, s52                             // 000000005294: D1ED00EB 00D25129
	v_cvt_pk_f32_fp8_sdwa v[38:39], v246 src0_sel:WORD_0       // 00000000529C: 7E4CACF9 000406F6
	v_cvt_pk_f32_fp8_sdwa v[40:41], v246 src0_sel:WORD_1       // 0000000052A4: 7E50ACF9 000506F6
	v_perm_b32 v236, v39, v38, s52                             // 0000000052AC: D1ED00EC 00D24D27
	v_perm_b32 v237, v41, v40, s52                             // 0000000052B4: D1ED00ED 00D25129
	v_cvt_pk_f32_fp8_sdwa v[38:39], v247 src0_sel:WORD_0       // 0000000052BC: 7E4CACF9 000406F7
	v_cvt_pk_f32_fp8_sdwa v[40:41], v247 src0_sel:WORD_1       // 0000000052C4: 7E50ACF9 000506F7
	v_perm_b32 v238, v39, v38, s52                             // 0000000052CC: D1ED00EE 00D24D27
	v_perm_b32 v239, v41, v40, s52                             // 0000000052D4: D1ED00EF 00D25129
	v_cvt_pk_f32_fp8_sdwa v[38:39], v248 src0_sel:WORD_0       // 0000000052DC: 7E4CACF9 000406F8
	v_cvt_pk_f32_fp8_sdwa v[40:41], v248 src0_sel:WORD_1       // 0000000052E4: 7E50ACF9 000506F8
	v_perm_b32 v240, v39, v38, s52                             // 0000000052EC: D1ED00F0 00D24D27
	v_perm_b32 v241, v41, v40, s52                             // 0000000052F4: D1ED00F1 00D25129
	v_cvt_pk_f32_fp8_sdwa v[38:39], v249 src0_sel:WORD_0       // 0000000052FC: 7E4CACF9 000406F9
	v_cvt_pk_f32_fp8_sdwa v[40:41], v249 src0_sel:WORD_1       // 000000005304: 7E50ACF9 000506F9
	v_perm_b32 v242, v39, v38, s52                             // 00000000530C: D1ED00F2 00D24D27
	v_perm_b32 v243, v41, v40, s52                             // 000000005314: D1ED00F3 00D25129
	v_cvt_pk_f32_fp8_sdwa v[38:39], v250 src0_sel:WORD_0       // 00000000531C: 7E4CACF9 000406FA
	v_cvt_pk_f32_fp8_sdwa v[40:41], v250 src0_sel:WORD_1       // 000000005324: 7E50ACF9 000506FA
	v_perm_b32 v244, v39, v38, s52                             // 00000000532C: D1ED00F4 00D24D27
	v_perm_b32 v245, v41, v40, s52                             // 000000005334: D1ED00F5 00D25129
	v_cvt_pk_f32_fp8_sdwa v[38:39], v251 src0_sel:WORD_0       // 00000000533C: 7E4CACF9 000406FB
	v_cvt_pk_f32_fp8_sdwa v[40:41], v251 src0_sel:WORD_1       // 000000005344: 7E50ACF9 000506FB
	v_perm_b32 v246, v39, v38, s52                             // 00000000534C: D1ED00F6 00D24D27
	v_perm_b32 v247, v41, v40, s52                             // 000000005354: D1ED00F7 00D25129
	v_cvt_pk_f32_fp8_sdwa v[38:39], v252 src0_sel:WORD_0       // 00000000535C: 7E4CACF9 000406FC
	v_cvt_pk_f32_fp8_sdwa v[40:41], v252 src0_sel:WORD_1       // 000000005364: 7E50ACF9 000506FC
	v_perm_b32 v248, v39, v38, s52                             // 00000000536C: D1ED00F8 00D24D27
	v_perm_b32 v249, v41, v40, s52                             // 000000005374: D1ED00F9 00D25129
	v_cvt_pk_f32_fp8_sdwa v[38:39], v253 src0_sel:WORD_0       // 00000000537C: 7E4CACF9 000406FD
	v_cvt_pk_f32_fp8_sdwa v[40:41], v253 src0_sel:WORD_1       // 000000005384: 7E50ACF9 000506FD
	v_perm_b32 v250, v39, v38, s52                             // 00000000538C: D1ED00FA 00D24D27
	v_perm_b32 v251, v41, v40, s52                             // 000000005394: D1ED00FB 00D25129
	v_cvt_pk_f32_fp8_sdwa v[38:39], v254 src0_sel:WORD_0       // 00000000539C: 7E4CACF9 000406FE
	v_cvt_pk_f32_fp8_sdwa v[40:41], v254 src0_sel:WORD_1       // 0000000053A4: 7E50ACF9 000506FE
	v_perm_b32 v252, v39, v38, s52                             // 0000000053AC: D1ED00FC 00D24D27
	v_perm_b32 v253, v41, v40, s52                             // 0000000053B4: D1ED00FD 00D25129
	v_cvt_pk_f32_fp8_sdwa v[38:39], v255 src0_sel:WORD_0       // 0000000053BC: 7E4CACF9 000406FF
	v_cvt_pk_f32_fp8_sdwa v[40:41], v255 src0_sel:WORD_1       // 0000000053C4: 7E50ACF9 000506FF
	v_perm_b32 v254, v39, v38, s52                             // 0000000053CC: D1ED00FE 00D24D27
	v_perm_b32 v255, v41, v40, s52                             // 0000000053D4: D1ED00FF 00D25129
	v_add_f32_e32 v112, v112, v104                             // 0000000053DC: 02E0D170
	v_add_f32_e32 v113, v113, v105                             // 0000000053E0: 02E2D371
	v_add_f32_e32 v114, v114, v106                             // 0000000053E4: 02E4D572
	v_add_f32_e32 v115, v115, v107                             // 0000000053E8: 02E6D773
	s_waitcnt lgkmcnt(7)                                       // 0000000053EC: BF8CC77F
	v_mov_b32_dpp v64, v88 row_shl:8 row_mask:0xf bank_mask:0xf bound_ctrl:1// 0000000053F0: 7E8002FA FF090858
	v_and_b32_e32 v88, v88, v9                                 // 0000000053F8: 26B01358
	v_mov_b32_dpp v65, v89 row_shl:8 row_mask:0xf bank_mask:0xf bound_ctrl:1// 0000000053FC: 7E8202FA FF090859
	v_and_b32_e32 v89, v89, v9                                 // 000000005404: 26B21359
	s_waitcnt lgkmcnt(6)                                       // 000000005408: BF8CC67F
	v_mov_b32_dpp v66, v90 row_shl:8 row_mask:0xf bank_mask:0xf bound_ctrl:1// 00000000540C: 7E8402FA FF09085A
	v_and_b32_e32 v90, v90, v9                                 // 000000005414: 26B4135A
	v_mov_b32_dpp v67, v91 row_shl:8 row_mask:0xf bank_mask:0xf bound_ctrl:1// 000000005418: 7E8602FA FF09085B
	v_and_b32_e32 v91, v91, v9                                 // 000000005420: 26B6135B
	s_waitcnt lgkmcnt(5)                                       // 000000005424: BF8CC57F
	v_mov_b32_dpp v68, v92 row_shl:8 row_mask:0xf bank_mask:0xf bound_ctrl:1// 000000005428: 7E8802FA FF09085C
	v_and_b32_e32 v92, v92, v9                                 // 000000005430: 26B8135C
	v_mov_b32_dpp v69, v93 row_shl:8 row_mask:0xf bank_mask:0xf bound_ctrl:1// 000000005434: 7E8A02FA FF09085D
	v_and_b32_e32 v93, v93, v9                                 // 00000000543C: 26BA135D
	s_waitcnt lgkmcnt(4)                                       // 000000005440: BF8CC47F
	v_mov_b32_dpp v70, v94 row_shl:8 row_mask:0xf bank_mask:0xf bound_ctrl:1// 000000005444: 7E8C02FA FF09085E
	v_and_b32_e32 v94, v94, v9                                 // 00000000544C: 26BC135E
	v_mov_b32_dpp v71, v95 row_shl:8 row_mask:0xf bank_mask:0xf bound_ctrl:1// 000000005450: 7E8E02FA FF09085F
	v_and_b32_e32 v95, v95, v9                                 // 000000005458: 26BE135F
	s_waitcnt lgkmcnt(3)                                       // 00000000545C: BF8CC37F
	v_mov_b32_dpp v72, v96 row_shl:8 row_mask:0xf bank_mask:0xf bound_ctrl:1// 000000005460: 7E9002FA FF090860
	v_and_b32_e32 v96, v96, v9                                 // 000000005468: 26C01360
	v_mov_b32_dpp v73, v97 row_shl:8 row_mask:0xf bank_mask:0xf bound_ctrl:1// 00000000546C: 7E9202FA FF090861
	v_and_b32_e32 v97, v97, v9                                 // 000000005474: 26C21361
	s_waitcnt lgkmcnt(2)                                       // 000000005478: BF8CC27F
	v_mov_b32_dpp v74, v98 row_shl:8 row_mask:0xf bank_mask:0xf bound_ctrl:1// 00000000547C: 7E9402FA FF090862
	v_and_b32_e32 v98, v98, v9                                 // 000000005484: 26C41362
	v_mov_b32_dpp v75, v99 row_shl:8 row_mask:0xf bank_mask:0xf bound_ctrl:1// 000000005488: 7E9602FA FF090863
	v_and_b32_e32 v99, v99, v9                                 // 000000005490: 26C61363
	s_waitcnt lgkmcnt(1)                                       // 000000005494: BF8CC17F
	v_mov_b32_dpp v76, v100 row_shl:8 row_mask:0xf bank_mask:0xf bound_ctrl:1// 000000005498: 7E9802FA FF090864
	v_and_b32_e32 v100, v100, v9                               // 0000000054A0: 26C81364
	v_mov_b32_dpp v77, v101 row_shl:8 row_mask:0xf bank_mask:0xf bound_ctrl:1// 0000000054A4: 7E9A02FA FF090865
	v_and_b32_e32 v101, v101, v9                               // 0000000054AC: 26CA1365
	s_waitcnt lgkmcnt(0)                                       // 0000000054B0: BF8CC07F
	v_mov_b32_dpp v78, v102 row_shl:8 row_mask:0xf bank_mask:0xf bound_ctrl:1// 0000000054B4: 7E9C02FA FF090866
	v_and_b32_e32 v102, v102, v9                               // 0000000054BC: 26CC1366
	v_mov_b32_dpp v79, v103 row_shl:8 row_mask:0xf bank_mask:0xf bound_ctrl:1// 0000000054C0: 7E9E02FA FF090867
	v_and_b32_e32 v103, v103, v9                               // 0000000054C8: 26CE1367
	s_waitcnt vmcnt(15)                                        // 0000000054CC: BF8C0F7F
	v_mfma_f32_16x16x16_bf16 v[104:107], v[160:161], v[88:89], 0// 0000000054D0: D3E10068 0202B1A0
	buffer_load_dwordx4 v[208:211], v30, s[20:23], 0 offen offset:1024// 0000000054D8: E05C1400 8005D01E
	v_mfma_f32_16x16x16_bf16 v[104:107], v[162:163], v[90:91], v[104:107]// 0000000054E0: D3E10068 05A2B5A2
	v_mfma_f32_16x16x16_bf16 v[104:107], v[164:165], v[92:93], v[104:107]// 0000000054E8: D3E10068 05A2B9A4
	v_mfma_f32_16x16x16_bf16 v[104:107], v[166:167], v[94:95], v[104:107]// 0000000054F0: D3E10068 05A2BDA6
	v_mfma_f32_16x16x16_bf16 v[104:107], v[168:169], v[96:97], v[104:107]// 0000000054F8: D3E10068 05A2C1A8
	buffer_load_dwordx4 v[212:215], v31, s[20:23], 0 offen offset:1024// 000000005500: E05C1400 8005D41F
	v_mfma_f32_16x16x16_bf16 v[104:107], v[170:171], v[98:99], v[104:107]// 000000005508: D3E10068 05A2C5AA
	v_mfma_f32_16x16x16_bf16 v[104:107], v[172:173], v[100:101], v[104:107]// 000000005510: D3E10068 05A2C9AC
	v_mfma_f32_16x16x16_bf16 v[104:107], v[174:175], v[102:103], v[104:107]// 000000005518: D3E10068 05A2CDAE
	v_mfma_f32_16x16x16_bf16 v[104:107], v[176:177], v[64:65], v[104:107]// 000000005520: D3E10068 05A281B0
	buffer_load_dwordx4 v[216:219], v32, s[20:23], 0 offen offset:1024// 000000005528: E05C1400 8005D820
	v_mfma_f32_16x16x16_bf16 v[104:107], v[178:179], v[66:67], v[104:107]// 000000005530: D3E10068 05A285B2
	v_mfma_f32_16x16x16_bf16 v[104:107], v[180:181], v[68:69], v[104:107]// 000000005538: D3E10068 05A289B4
	v_mfma_f32_16x16x16_bf16 v[104:107], v[182:183], v[70:71], v[104:107]// 000000005540: D3E10068 05A28DB6
	v_mfma_f32_16x16x16_bf16 v[104:107], v[184:185], v[72:73], v[104:107]// 000000005548: D3E10068 05A291B8
	buffer_load_dwordx4 v[220:223], v33, s[20:23], 0 offen offset:1024// 000000005550: E05C1400 8005DC21
	v_mfma_f32_16x16x16_bf16 v[104:107], v[186:187], v[74:75], v[104:107]// 000000005558: D3E10068 05A295BA
	v_mfma_f32_16x16x16_bf16 v[104:107], v[188:189], v[76:77], v[104:107]// 000000005560: D3E10068 05A299BC
	s_lshr_b32 s57, s70, 4                                     // 000000005568: 8F398446
	s_add_u32 s57, 48, s57                                     // 00000000556C: 803939B0
	v_mfma_f32_16x16x16_bf16 v[104:107], v[190:191], v[78:79], v[104:107]// 000000005570: D3E10068 05A29DBE
	s_cmp_ge_u32 s57, s73                                      // 000000005578: BF094939
	s_cselect_b32 s56, 0, s56                                  // 00000000557C: 85383880
	v_mfma_f32_16x16x16_bf16 v[108:111], v[224:225], v[88:89], 0// 000000005580: D3E1006C 0202B1E0
	v_mfma_f32_16x16x16_bf16 v[108:111], v[226:227], v[90:91], v[108:111]// 000000005588: D3E1006C 05B2B5E2
	v_mfma_f32_16x16x16_bf16 v[108:111], v[228:229], v[92:93], v[108:111]// 000000005590: D3E1006C 05B2B9E4
	v_mfma_f32_16x16x16_bf16 v[108:111], v[230:231], v[94:95], v[108:111]// 000000005598: D3E1006C 05B2BDE6
	v_mfma_f32_16x16x16_bf16 v[108:111], v[232:233], v[96:97], v[108:111]// 0000000055A0: D3E1006C 05B2C1E8
	v_mfma_f32_16x16x16_bf16 v[108:111], v[234:235], v[98:99], v[108:111]// 0000000055A8: D3E1006C 05B2C5EA
	v_mfma_f32_16x16x16_bf16 v[108:111], v[236:237], v[100:101], v[108:111]// 0000000055B0: D3E1006C 05B2C9EC
	v_mfma_f32_16x16x16_bf16 v[108:111], v[238:239], v[102:103], v[108:111]// 0000000055B8: D3E1006C 05B2CDEE
	v_mfma_f32_16x16x16_bf16 v[108:111], v[240:241], v[64:65], v[108:111]// 0000000055C0: D3E1006C 05B281F0
	v_mfma_f32_16x16x16_bf16 v[108:111], v[242:243], v[66:67], v[108:111]// 0000000055C8: D3E1006C 05B285F2
	v_mfma_f32_16x16x16_bf16 v[108:111], v[244:245], v[68:69], v[108:111]// 0000000055D0: D3E1006C 05B289F4
	v_mfma_f32_16x16x16_bf16 v[108:111], v[246:247], v[70:71], v[108:111]// 0000000055D8: D3E1006C 05B28DF6
	v_mfma_f32_16x16x16_bf16 v[108:111], v[248:249], v[72:73], v[108:111]// 0000000055E0: D3E1006C 05B291F8
	v_mfma_f32_16x16x16_bf16 v[108:111], v[250:251], v[74:75], v[108:111]// 0000000055E8: D3E1006C 05B295FA
	v_mfma_f32_16x16x16_bf16 v[108:111], v[252:253], v[76:77], v[108:111]// 0000000055F0: D3E1006C 05B299FC
	v_mfma_f32_16x16x16_bf16 v[108:111], v[254:255], v[78:79], v[108:111]// 0000000055F8: D3E1006C 05B29DFE
	v_add_u32_e32 v1, s56, v1                                  // 000000005600: 68020238
	s_addk_i32 s70, 0x100                                      // 000000005604: B7460100
	s_cmp_lt_i32 s70, s71                                      // 000000005608: BF044746
	s_cbranch_scc0 label_079F                                  // 00000000560C: BF84FA5B
	s_branch label_07A2                                        // 000000005610: BF82FA5D

0000000000005614 <label_0D45>:
	s_lshr_b32 s60, s71, 4                                     // 000000005614: 8F3C8447
	s_cmp_eq_i32 s60, s73                                      // 000000005618: BF00493C
	s_cbranch_scc1 label_12F4                                  // 00000000561C: BF8505AC
	s_lshr_b32 s60, s71, 8                                     // 000000005620: 8F3C8847
	s_and_b32 s60, s60, 1                                      // 000000005624: 863C813C
	s_cmp_eq_i32 s60, 1                                        // 000000005628: BF00813C
	s_cbranch_scc1 label_1020                                  // 00000000562C: BF8502D4
	s_waitcnt vmcnt(8) lgkmcnt(0)                              // 000000005630: BF8C0078
	s_barrier                                                  // 000000005634: BF8A0000
	v_mfma_f32_16x16x32_fp8_fp8 v[88:91], v[128:129], v[80:81], 0// 000000005638: D3F30058 0202A180
	v_mfma_f32_16x16x32_fp8_fp8 v[88:91], v[130:131], v[82:83], v[88:91]// 000000005640: D3F30058 0562A582
	v_mfma_f32_16x16x32_fp8_fp8 v[88:91], v[132:133], v[84:85], v[88:91]// 000000005648: D3F30058 0562A984
	v_mfma_f32_16x16x32_fp8_fp8 v[88:91], v[134:135], v[86:87], v[88:91]// 000000005650: D3F30058 0562AD86
	v_mfma_f32_16x16x32_fp8_fp8 v[92:95], v[136:137], v[80:81], 0// 000000005658: D3F3005C 0202A188
	v_mfma_f32_16x16x32_fp8_fp8 v[92:95], v[138:139], v[82:83], v[92:95]// 000000005660: D3F3005C 0572A58A
	v_mfma_f32_16x16x32_fp8_fp8 v[92:95], v[140:141], v[84:85], v[92:95]// 000000005668: D3F3005C 0572A98C
	v_mfma_f32_16x16x32_fp8_fp8 v[92:95], v[142:143], v[86:87], v[92:95]// 000000005670: D3F3005C 0572AD8E
	v_mfma_f32_16x16x32_fp8_fp8 v[96:99], v[144:145], v[80:81], 0// 000000005678: D3F30060 0202A190
	v_mfma_f32_16x16x32_fp8_fp8 v[96:99], v[146:147], v[82:83], v[96:99]// 000000005680: D3F30060 0582A592
	v_mfma_f32_16x16x32_fp8_fp8 v[96:99], v[148:149], v[84:85], v[96:99]// 000000005688: D3F30060 0582A994
	v_mfma_f32_16x16x32_fp8_fp8 v[96:99], v[150:151], v[86:87], v[96:99]// 000000005690: D3F30060 0582AD96
	v_mfma_f32_16x16x32_fp8_fp8 v[100:103], v[152:153], v[80:81], 0// 000000005698: D3F30064 0202A198
	v_mfma_f32_16x16x32_fp8_fp8 v[100:103], v[154:155], v[82:83], v[100:103]// 0000000056A0: D3F30064 0592A59A
	v_mfma_f32_16x16x32_fp8_fp8 v[100:103], v[156:157], v[84:85], v[100:103]// 0000000056A8: D3F30064 0592A99C
	v_mfma_f32_16x16x32_fp8_fp8 v[100:103], v[158:159], v[86:87], v[100:103]// 0000000056B0: D3F30064 0592AD9E
	v_mov_b32_dpp v38, v44 row_shr:4 row_mask:0xf bank_mask:0xf// 0000000056B8: 7E4C02FA FF01142C
	v_mov_b32_dpp v39, v44 row_shl:4 row_mask:0xf bank_mask:0xf// 0000000056C0: 7E4E02FA FF01042C
	v_cndmask_b32_e64 v124, v44, v38, s[44:45]                 // 0000000056C8: D100007C 00B24D2C
	v_cndmask_b32_e64 v125, v39, v44, s[44:45]                 // 0000000056D0: D100007D 00B25927
	v_mov_b32_dpp v38, v55 row_shr:4 row_mask:0xf bank_mask:0xf// 0000000056D8: 7E4C02FA FF011437
	v_mov_b32_dpp v39, v55 row_shl:4 row_mask:0xf bank_mask:0xf// 0000000056E0: 7E4E02FA FF010437
	v_cndmask_b32_e64 v126, v55, v38, s[44:45]                 // 0000000056E8: D100007E 00B24D37
	v_cndmask_b32_e64 v127, v39, v55, s[44:45]                 // 0000000056F0: D100007F 00B26F27
	v_or_b32_dpp v88, v96, v88 row_shr:8 row_mask:0xf bank_mask:0xf bound_ctrl:1// 0000000056F8: 28B0B0FA FF091860
	v_or_b32_dpp v89, v97, v89 row_shr:8 row_mask:0xf bank_mask:0xf bound_ctrl:1// 000000005700: 28B2B2FA FF091861
	v_or_b32_dpp v90, v98, v90 row_shr:8 row_mask:0xf bank_mask:0xf bound_ctrl:1// 000000005708: 28B4B4FA FF091862
	v_or_b32_dpp v91, v99, v91 row_shr:8 row_mask:0xf bank_mask:0xf bound_ctrl:1// 000000005710: 28B6B6FA FF091863
	v_or_b32_dpp v92, v100, v92 row_shr:8 row_mask:0xf bank_mask:0xf bound_ctrl:1// 000000005718: 28B8B8FA FF091864
	v_or_b32_dpp v93, v101, v93 row_shr:8 row_mask:0xf bank_mask:0xf bound_ctrl:1// 000000005720: 28BABAFA FF091865
	v_or_b32_dpp v94, v102, v94 row_shr:8 row_mask:0xf bank_mask:0xf bound_ctrl:1// 000000005728: 28BCBCFA FF091866
	v_or_b32_dpp v95, v103, v95 row_shr:8 row_mask:0xf bank_mask:0xf bound_ctrl:1// 000000005730: 28BEBEFA FF091867
	v_mul_f32_e32 v88, v46, v88                                // 000000005738: 0AB0B12E
	v_mul_f32_e32 v89, v46, v89                                // 00000000573C: 0AB2B32E
	v_mul_f32_e32 v90, v46, v90                                // 000000005740: 0AB4B52E
	v_mul_f32_e32 v91, v46, v91                                // 000000005744: 0AB6B72E
	v_mul_f32_e32 v92, v46, v92                                // 000000005748: 0AB8B92E
	v_mul_f32_e32 v93, v46, v93                                // 00000000574C: 0ABABB2E
	v_mul_f32_e32 v94, v46, v94                                // 000000005750: 0ABCBD2E
	v_mul_f32_e32 v95, v46, v95                                // 000000005754: 0ABEBF2E
	v_mul_f32_dpp v88, v124, v88 quad_perm:[0,0,0,0] row_mask:0xf bank_mask:0xf// 000000005758: 0AB0B0FA FF00007C
	v_mul_f32_dpp v89, v124, v89 quad_perm:[1,1,1,1] row_mask:0xf bank_mask:0xf// 000000005760: 0AB2B2FA FF00557C
	v_mul_f32_dpp v90, v124, v90 quad_perm:[2,2,2,2] row_mask:0xf bank_mask:0xf// 000000005768: 0AB4B4FA FF00AA7C
	v_mul_f32_dpp v91, v124, v91 quad_perm:[3,3,3,3] row_mask:0xf bank_mask:0xf// 000000005770: 0AB6B6FA FF00FF7C
	v_mul_f32_dpp v92, v125, v92 quad_perm:[0,0,0,0] row_mask:0xf bank_mask:0xf// 000000005778: 0AB8B8FA FF00007D
	v_mul_f32_dpp v93, v125, v93 quad_perm:[1,1,1,1] row_mask:0xf bank_mask:0xf// 000000005780: 0ABABAFA FF00557D
	v_mul_f32_dpp v94, v125, v94 quad_perm:[2,2,2,2] row_mask:0xf bank_mask:0xf// 000000005788: 0ABCBCFA FF00AA7D
	v_mul_f32_dpp v95, v125, v95 quad_perm:[3,3,3,3] row_mask:0xf bank_mask:0xf// 000000005790: 0ABEBEFA FF00FF7D
	s_and_b32 s60, s72, 0xff                                   // 000000005798: 863CFF48 000000FF
	v_mov_b32_e32 v62, s60                                     // 0000000057A0: 7E7C023C
	v_lshrrev_b32_e32 v116, 4, v0                              // 0000000057A4: 20E80084
	v_mul_i32_i24_e32 v116, 4, v116                            // 0000000057A8: 0CE8E884
	v_and_b32_e32 v38, 15, v0                                  // 0000000057AC: 264C008F
	v_lshrrev_b32_e32 v38, 3, v38                              // 0000000057B0: 204C4C83
	v_mul_i32_i24_e32 v38, 0x80, v38                           // 0000000057B4: 0C4C4CFF 00000080
	v_add_u32_e32 v116, v38, v116                              // 0000000057BC: 68E8E926
	s_mul_i32 s60, s7, 16                                      // 0000000057C0: 923C9007
	v_add_u32_e32 v116, s60, v116                              // 0000000057C4: 68E8E83C
	v_add_u32_e32 v117, 1, v116                                // 0000000057C8: 68EAE881
	v_add_u32_e32 v118, 2, v116                                // 0000000057CC: 68ECE882
	v_add_u32_e32 v119, 3, v116                                // 0000000057D0: 68EEE883
	v_cmp_lt_u32_e64 s[40:41], v116, v62                       // 0000000057D4: D0C90028 00027D74
	v_add_u32_e32 v116, 64, v116                               // 0000000057DC: 68E8E8C0
	s_nop 0                                                    // 0000000057E0: BF800000
	v_cndmask_b32_e64 v88, v52, v88, s[40:41]                  // 0000000057E4: D1000058 00A2B134
	v_cmp_lt_u32_e64 s[40:41], v117, v62                       // 0000000057EC: D0C90028 00027D75
	v_add_u32_e32 v117, 64, v117                               // 0000000057F4: 68EAEAC0
	s_nop 0                                                    // 0000000057F8: BF800000
	v_cndmask_b32_e64 v89, v52, v89, s[40:41]                  // 0000000057FC: D1000059 00A2B334
	v_cmp_lt_u32_e64 s[40:41], v118, v62                       // 000000005804: D0C90028 00027D76
	v_add_u32_e32 v118, 64, v118                               // 00000000580C: 68ECECC0
	s_nop 0                                                    // 000000005810: BF800000
	v_cndmask_b32_e64 v90, v52, v90, s[40:41]                  // 000000005814: D100005A 00A2B534
	v_cmp_lt_u32_e64 s[40:41], v119, v62                       // 00000000581C: D0C90028 00027D77
	v_add_u32_e32 v119, 64, v119                               // 000000005824: 68EEEEC0
	s_nop 0                                                    // 000000005828: BF800000
	v_cndmask_b32_e64 v91, v52, v91, s[40:41]                  // 00000000582C: D100005B 00A2B734
	v_cmp_lt_u32_e64 s[40:41], v116, v62                       // 000000005834: D0C90028 00027D74
	v_add_u32_e32 v116, 64, v116                               // 00000000583C: 68E8E8C0
	s_nop 0                                                    // 000000005840: BF800000
	v_cndmask_b32_e64 v92, v52, v92, s[40:41]                  // 000000005844: D100005C 00A2B934
	v_cmp_lt_u32_e64 s[40:41], v117, v62                       // 00000000584C: D0C90028 00027D75
	v_add_u32_e32 v117, 64, v117                               // 000000005854: 68EAEAC0
	s_nop 0                                                    // 000000005858: BF800000
	v_cndmask_b32_e64 v93, v52, v93, s[40:41]                  // 00000000585C: D100005D 00A2BB34
	v_cmp_lt_u32_e64 s[40:41], v118, v62                       // 000000005864: D0C90028 00027D76
	v_add_u32_e32 v118, 64, v118                               // 00000000586C: 68ECECC0
	s_nop 0                                                    // 000000005870: BF800000
	v_cndmask_b32_e64 v94, v52, v94, s[40:41]                  // 000000005874: D100005E 00A2BD34
	v_cmp_lt_u32_e64 s[40:41], v119, v62                       // 00000000587C: D0C90028 00027D77
	v_add_u32_e32 v119, 64, v119                               // 000000005884: 68EEEEC0
	s_nop 0                                                    // 000000005888: BF800000
	v_cndmask_b32_e64 v95, v52, v95, s[40:41]                  // 00000000588C: D100005F 00A2BF34
	v_mov_b32_e32 v48, v88                                     // 000000005894: 7E600358
	v_max3_f32 v48, v88, v89, v48                              // 000000005898: D1D30030 04C2B358
	v_max3_f32 v48, v90, v91, v48                              // 0000000058A0: D1D30030 04C2B75A
	v_max3_f32 v48, v92, v93, v48                              // 0000000058A8: D1D30030 04C2BB5C
	v_max3_f32 v48, v94, v95, v48                              // 0000000058B0: D1D30030 04C2BF5E
	ds_write_b32 v11, v48 offset:4224                          // 0000000058B8: D81A1080 0000300B
	v_mul_u32_u24_dpp v38, v17, v51 row_newbcast:1 row_mask:0xf bank_mask:0xf// 0000000058C0: 104C66FA FF015111
	v_mul_u32_u24_dpp v39, v17, v51 row_newbcast:5 row_mask:0xf bank_mask:0xf// 0000000058C8: 104E66FA FF015511
	v_mul_u32_u24_dpp v40, v17, v51 row_newbcast:9 row_mask:0xf bank_mask:0xf// 0000000058D0: 105066FA FF015911
	v_mul_u32_u24_dpp v41, v17, v51 row_newbcast:13 row_mask:0xf bank_mask:0xf// 0000000058D8: 105266FA FF015D11
	v_add_u32_e32 v34, v38, v7                                 // 0000000058E0: 68440F26
	v_add_u32_e32 v35, v39, v7                                 // 0000000058E4: 68460F27
	v_add_u32_e32 v36, v40, v7                                 // 0000000058E8: 68480F28
	v_add_u32_e32 v37, v41, v7                                 // 0000000058EC: 684A0F29
	s_waitcnt lgkmcnt(0)                                       // 0000000058F0: BF8CC07F
	s_barrier                                                  // 0000000058F4: BF8A0000
	ds_read_b32 v64, v10 offset:4224                           // 0000000058F8: D86C1080 4000000A
	ds_read_b32 v65, v10 offset:4288                           // 000000005900: D86C10C0 4100000A
	ds_read_b32 v66, v10 offset:4352                           // 000000005908: D86C1100 4200000A
	ds_read_b32 v67, v10 offset:4416                           // 000000005910: D86C1140 4300000A
	ds_read_b32 v68, v10 offset:4480                           // 000000005918: D86C1180 4400000A
	ds_read_b32 v69, v10 offset:4544                           // 000000005920: D86C11C0 4500000A
	ds_read_b32 v70, v10 offset:4608                           // 000000005928: D86C1200 4600000A
	ds_read_b32 v71, v10 offset:4672                           // 000000005930: D86C1240 4700000A
	ds_read_b32 v72, v10 offset:4736                           // 000000005938: D86C1280 4800000A
	ds_read_b32 v73, v10 offset:4800                           // 000000005940: D86C12C0 4900000A
	ds_read_b32 v74, v10 offset:4864                           // 000000005948: D86C1300 4A00000A
	ds_read_b32 v75, v10 offset:4928                           // 000000005950: D86C1340 4B00000A
	ds_read_b32 v76, v10 offset:4992                           // 000000005958: D86C1380 4C00000A
	ds_read_b32 v77, v10 offset:5056                           // 000000005960: D86C13C0 4D00000A
	ds_read_b32 v78, v10 offset:5120                           // 000000005968: D86C1400 4E00000A
	ds_read_b32 v79, v10 offset:5184                           // 000000005970: D86C1440 4F00000A
	v_mul_f32_e32 v112, v49, v112                              // 000000005978: 0AE0E131
	v_mul_f32_e32 v113, v49, v113                              // 00000000597C: 0AE2E331
	v_mul_f32_e32 v114, v49, v114                              // 000000005980: 0AE4E531
	v_mul_f32_e32 v115, v49, v115                              // 000000005984: 0AE6E731
	v_or_b32_dpp v104, v108, v104 row_shr:8 row_mask:0xf bank_mask:0xf bound_ctrl:1// 000000005988: 28D0D0FA FF09186C
	v_or_b32_dpp v105, v109, v105 row_shr:8 row_mask:0xf bank_mask:0xf bound_ctrl:1// 000000005990: 28D2D2FA FF09186D
	v_or_b32_dpp v106, v110, v106 row_shr:8 row_mask:0xf bank_mask:0xf bound_ctrl:1// 000000005998: 28D4D4FA FF09186E
	v_or_b32_dpp v107, v111, v107 row_shr:8 row_mask:0xf bank_mask:0xf bound_ctrl:1// 0000000059A0: 28D6D6FA FF09186F
	s_waitcnt lgkmcnt(0)                                       // 0000000059A8: BF8CC07F
	v_max3_f32 v48, v64, v65, v48                              // 0000000059AC: D1D30030 04C28340
	v_max3_f32 v48, v66, v67, v48                              // 0000000059B4: D1D30030 04C28742
	v_max3_f32 v48, v68, v69, v48                              // 0000000059BC: D1D30030 04C28B44
	v_max3_f32 v48, v70, v71, v48                              // 0000000059C4: D1D30030 04C28F46
	v_max3_f32 v48, v72, v73, v48                              // 0000000059CC: D1D30030 04C29348
	v_max3_f32 v48, v74, v75, v48                              // 0000000059D4: D1D30030 04C2974A
	v_max3_f32 v48, v76, v77, v48                              // 0000000059DC: D1D30030 04C29B4C
	v_max3_f32 v48, v78, v79, v48                              // 0000000059E4: D1D30030 04C29F4E
	v_cmp_eq_u32_e64 s[40:41], v52, v14                        // 0000000059EC: D0CA0028 00021D34
	s_nop 1                                                    // 0000000059F4: BF800001
	v_mov_b32_dpp v38, v48 row_ror:8 row_mask:0xf bank_mask:0xf// 0000000059F8: 7E4C02FA FF012830
	v_max_f32_e32 v48, v48, v38                                // 000000005A00: 16604D30
	v_max_f32_e32 v15, v48, v14                                // 000000005A04: 161E1D30
	v_mul_f32_e32 v50, s64, v15                                // 000000005A08: 0A641E40
	v_fma_f32 v88, v88, s64, -v50                              // 000000005A0C: D1CB0058 84C88158
	v_fma_f32 v89, v89, s64, -v50                              // 000000005A14: D1CB0059 84C88159
	v_fma_f32 v90, v90, s64, -v50                              // 000000005A1C: D1CB005A 84C8815A
	v_fma_f32 v91, v91, s64, -v50                              // 000000005A24: D1CB005B 84C8815B
	v_fma_f32 v92, v92, s64, -v50                              // 000000005A2C: D1CB005C 84C8815C
	v_fma_f32 v93, v93, s64, -v50                              // 000000005A34: D1CB005D 84C8815D
	v_fma_f32 v94, v94, s64, -v50                              // 000000005A3C: D1CB005E 84C8815E
	v_fma_f32 v95, v95, s64, -v50                              // 000000005A44: D1CB005F 84C8815F
	v_exp_f32_e32 v88, v88                                     // 000000005A4C: 7EB04158
	v_exp_f32_e32 v89, v89                                     // 000000005A50: 7EB24159
	v_exp_f32_e32 v90, v90                                     // 000000005A54: 7EB4415A
	v_exp_f32_e32 v91, v91                                     // 000000005A58: 7EB6415B
	v_exp_f32_e32 v92, v92                                     // 000000005A5C: 7EB8415C
	v_exp_f32_e32 v93, v93                                     // 000000005A60: 7EBA415D
	v_exp_f32_e32 v94, v94                                     // 000000005A64: 7EBC415E
	v_exp_f32_e32 v95, v95                                     // 000000005A68: 7EBE415F
	v_mul_f32_dpp v116, v126, v88 quad_perm:[0,0,0,0] row_mask:0xf bank_mask:0xf// 000000005A6C: 0AE8B0FA FF00007E
	v_mul_f32_dpp v117, v126, v89 quad_perm:[1,1,1,1] row_mask:0xf bank_mask:0xf// 000000005A74: 0AEAB2FA FF00557E
	v_mul_f32_dpp v118, v126, v90 quad_perm:[2,2,2,2] row_mask:0xf bank_mask:0xf// 000000005A7C: 0AECB4FA FF00AA7E
	v_mul_f32_dpp v119, v126, v91 quad_perm:[3,3,3,3] row_mask:0xf bank_mask:0xf// 000000005A84: 0AEEB6FA FF00FF7E
	v_mul_f32_dpp v120, v127, v92 quad_perm:[0,0,0,0] row_mask:0xf bank_mask:0xf// 000000005A8C: 0AF0B8FA FF00007F
	v_mul_f32_dpp v121, v127, v93 quad_perm:[1,1,1,1] row_mask:0xf bank_mask:0xf// 000000005A94: 0AF2BAFA FF00557F
	v_mul_f32_dpp v122, v127, v94 quad_perm:[2,2,2,2] row_mask:0xf bank_mask:0xf// 000000005A9C: 0AF4BCFA FF00AA7F
	v_mul_f32_dpp v123, v127, v95 quad_perm:[3,3,3,3] row_mask:0xf bank_mask:0xf// 000000005AA4: 0AF6BEFA FF00FF7F
	v_sub_f32_e32 v49, v14, v15                                // 000000005AAC: 04621F0E
	v_cndmask_b32_e64 v49, v49, 0, s[40:41]                    // 000000005AB0: D1000031 00A10131
	v_mov_b32_e32 v14, v15                                     // 000000005AB8: 7E1C030F
	v_mul_f32_e32 v49, s64, v49                                // 000000005ABC: 0A626240
	v_exp_f32_e32 v49, v49                                     // 000000005AC0: 7E624131
	s_nop 2                                                    // 000000005AC4: BF800002
	v_mul_f32_e32 v42, v49, v42                                // 000000005AC8: 0A545531
	v_mov_b32_e32 v43, v88                                     // 000000005ACC: 7E560358
	v_add_f32_e32 v43, v89, v43                                // 000000005AD0: 02565759
	v_add_f32_e32 v43, v90, v43                                // 000000005AD4: 0256575A
	v_add_f32_e32 v43, v91, v43                                // 000000005AD8: 0256575B
	v_add_f32_e32 v43, v92, v43                                // 000000005ADC: 0256575C
	v_add_f32_e32 v43, v93, v43                                // 000000005AE0: 0256575D
	v_add_f32_e32 v43, v94, v43                                // 000000005AE4: 0256575E
	v_add_f32_e32 v43, v95, v43                                // 000000005AE8: 0256575F
	v_add_f32_e32 v42, v43, v42                                // 000000005AEC: 0254552B
	v_perm_b32 v88, v117, v116, s52                            // 000000005AF0: D1ED0058 00D2E975
	v_perm_b32 v89, v119, v118, s52                            // 000000005AF8: D1ED0059 00D2ED77
	v_perm_b32 v90, v121, v120, s52                            // 000000005B00: D1ED005A 00D2F179
	v_perm_b32 v91, v123, v122, s52                            // 000000005B08: D1ED005B 00D2F57B
	s_nop 2                                                    // 000000005B10: BF800002
	v_mov_b32_dpp v38, v48 row_ror:8 row_mask:0xf bank_mask:0xf// 000000005B14: 7E4C02FA FF012830
	v_max_f32_e32 v48, v48, v38                                // 000000005B1C: 16604D30
	ds_write_b64 v13, v[88:89] offset:6272                     // 000000005B20: D89A1880 0000580D
	ds_write_b64 v13, v[90:91] offset:8320                     // 000000005B28: D89A2080 00005A0D
	s_waitcnt vmcnt(4)                                         // 000000005B30: BF8C0F74
	v_cvt_pk_f32_fp8_sdwa v[38:39], v192 src0_sel:WORD_0       // 000000005B34: 7E4CACF9 000406C0
	v_cvt_pk_f32_fp8_sdwa v[40:41], v192 src0_sel:WORD_1       // 000000005B3C: 7E50ACF9 000506C0
	v_perm_b32 v128, v39, v38, s52                             // 000000005B44: D1ED0080 00D24D27
	v_perm_b32 v129, v41, v40, s52                             // 000000005B4C: D1ED0081 00D25129
	v_cvt_pk_f32_fp8_sdwa v[38:39], v193 src0_sel:WORD_0       // 000000005B54: 7E4CACF9 000406C1
	v_cvt_pk_f32_fp8_sdwa v[40:41], v193 src0_sel:WORD_1       // 000000005B5C: 7E50ACF9 000506C1
	v_perm_b32 v130, v39, v38, s52                             // 000000005B64: D1ED0082 00D24D27
	v_perm_b32 v131, v41, v40, s52                             // 000000005B6C: D1ED0083 00D25129
	v_cvt_pk_f32_fp8_sdwa v[38:39], v194 src0_sel:WORD_0       // 000000005B74: 7E4CACF9 000406C2
	v_cvt_pk_f32_fp8_sdwa v[40:41], v194 src0_sel:WORD_1       // 000000005B7C: 7E50ACF9 000506C2
	v_perm_b32 v132, v39, v38, s52                             // 000000005B84: D1ED0084 00D24D27
	v_perm_b32 v133, v41, v40, s52                             // 000000005B8C: D1ED0085 00D25129
	v_cvt_pk_f32_fp8_sdwa v[38:39], v195 src0_sel:WORD_0       // 000000005B94: 7E4CACF9 000406C3
	v_cvt_pk_f32_fp8_sdwa v[40:41], v195 src0_sel:WORD_1       // 000000005B9C: 7E50ACF9 000506C3
	v_perm_b32 v134, v39, v38, s52                             // 000000005BA4: D1ED0086 00D24D27
	v_perm_b32 v135, v41, v40, s52                             // 000000005BAC: D1ED0087 00D25129
	v_cvt_pk_f32_fp8_sdwa v[38:39], v196 src0_sel:WORD_0       // 000000005BB4: 7E4CACF9 000406C4
	v_cvt_pk_f32_fp8_sdwa v[40:41], v196 src0_sel:WORD_1       // 000000005BBC: 7E50ACF9 000506C4
	v_perm_b32 v136, v39, v38, s52                             // 000000005BC4: D1ED0088 00D24D27
	v_perm_b32 v137, v41, v40, s52                             // 000000005BCC: D1ED0089 00D25129
	v_cvt_pk_f32_fp8_sdwa v[38:39], v197 src0_sel:WORD_0       // 000000005BD4: 7E4CACF9 000406C5
	v_cvt_pk_f32_fp8_sdwa v[40:41], v197 src0_sel:WORD_1       // 000000005BDC: 7E50ACF9 000506C5
	v_perm_b32 v138, v39, v38, s52                             // 000000005BE4: D1ED008A 00D24D27
	v_perm_b32 v139, v41, v40, s52                             // 000000005BEC: D1ED008B 00D25129
	v_cvt_pk_f32_fp8_sdwa v[38:39], v198 src0_sel:WORD_0       // 000000005BF4: 7E4CACF9 000406C6
	v_cvt_pk_f32_fp8_sdwa v[40:41], v198 src0_sel:WORD_1       // 000000005BFC: 7E50ACF9 000506C6
	v_perm_b32 v140, v39, v38, s52                             // 000000005C04: D1ED008C 00D24D27
	v_perm_b32 v141, v41, v40, s52                             // 000000005C0C: D1ED008D 00D25129
	v_cvt_pk_f32_fp8_sdwa v[38:39], v199 src0_sel:WORD_0       // 000000005C14: 7E4CACF9 000406C7
	v_cvt_pk_f32_fp8_sdwa v[40:41], v199 src0_sel:WORD_1       // 000000005C1C: 7E50ACF9 000506C7
	v_perm_b32 v142, v39, v38, s52                             // 000000005C24: D1ED008E 00D24D27
	v_perm_b32 v143, v41, v40, s52                             // 000000005C2C: D1ED008F 00D25129
	v_cvt_pk_f32_fp8_sdwa v[38:39], v200 src0_sel:WORD_0       // 000000005C34: 7E4CACF9 000406C8
	v_cvt_pk_f32_fp8_sdwa v[40:41], v200 src0_sel:WORD_1       // 000000005C3C: 7E50ACF9 000506C8
	v_perm_b32 v144, v39, v38, s52                             // 000000005C44: D1ED0090 00D24D27
	v_perm_b32 v145, v41, v40, s52                             // 000000005C4C: D1ED0091 00D25129
	v_cvt_pk_f32_fp8_sdwa v[38:39], v201 src0_sel:WORD_0       // 000000005C54: 7E4CACF9 000406C9
	v_cvt_pk_f32_fp8_sdwa v[40:41], v201 src0_sel:WORD_1       // 000000005C5C: 7E50ACF9 000506C9
	v_perm_b32 v146, v39, v38, s52                             // 000000005C64: D1ED0092 00D24D27
	v_perm_b32 v147, v41, v40, s52                             // 000000005C6C: D1ED0093 00D25129
	v_cvt_pk_f32_fp8_sdwa v[38:39], v202 src0_sel:WORD_0       // 000000005C74: 7E4CACF9 000406CA
	v_cvt_pk_f32_fp8_sdwa v[40:41], v202 src0_sel:WORD_1       // 000000005C7C: 7E50ACF9 000506CA
	v_perm_b32 v148, v39, v38, s52                             // 000000005C84: D1ED0094 00D24D27
	v_perm_b32 v149, v41, v40, s52                             // 000000005C8C: D1ED0095 00D25129
	v_cvt_pk_f32_fp8_sdwa v[38:39], v203 src0_sel:WORD_0       // 000000005C94: 7E4CACF9 000406CB
	v_cvt_pk_f32_fp8_sdwa v[40:41], v203 src0_sel:WORD_1       // 000000005C9C: 7E50ACF9 000506CB
	v_perm_b32 v150, v39, v38, s52                             // 000000005CA4: D1ED0096 00D24D27
	v_perm_b32 v151, v41, v40, s52                             // 000000005CAC: D1ED0097 00D25129
	v_cvt_pk_f32_fp8_sdwa v[38:39], v204 src0_sel:WORD_0       // 000000005CB4: 7E4CACF9 000406CC
	v_cvt_pk_f32_fp8_sdwa v[40:41], v204 src0_sel:WORD_1       // 000000005CBC: 7E50ACF9 000506CC
	v_perm_b32 v152, v39, v38, s52                             // 000000005CC4: D1ED0098 00D24D27
	v_perm_b32 v153, v41, v40, s52                             // 000000005CCC: D1ED0099 00D25129
	v_cvt_pk_f32_fp8_sdwa v[38:39], v205 src0_sel:WORD_0       // 000000005CD4: 7E4CACF9 000406CD
	v_cvt_pk_f32_fp8_sdwa v[40:41], v205 src0_sel:WORD_1       // 000000005CDC: 7E50ACF9 000506CD
	v_perm_b32 v154, v39, v38, s52                             // 000000005CE4: D1ED009A 00D24D27
	v_perm_b32 v155, v41, v40, s52                             // 000000005CEC: D1ED009B 00D25129
	v_cvt_pk_f32_fp8_sdwa v[38:39], v206 src0_sel:WORD_0       // 000000005CF4: 7E4CACF9 000406CE
	v_cvt_pk_f32_fp8_sdwa v[40:41], v206 src0_sel:WORD_1       // 000000005CFC: 7E50ACF9 000506CE
	v_perm_b32 v156, v39, v38, s52                             // 000000005D04: D1ED009C 00D24D27
	v_perm_b32 v157, v41, v40, s52                             // 000000005D0C: D1ED009D 00D25129
	v_cvt_pk_f32_fp8_sdwa v[38:39], v207 src0_sel:WORD_0       // 000000005D14: 7E4CACF9 000406CF
	v_cvt_pk_f32_fp8_sdwa v[40:41], v207 src0_sel:WORD_1       // 000000005D1C: 7E50ACF9 000506CF
	v_perm_b32 v158, v39, v38, s52                             // 000000005D24: D1ED009E 00D24D27
	v_perm_b32 v159, v41, v40, s52                             // 000000005D2C: D1ED009F 00D25129
	s_waitcnt lgkmcnt(0)                                       // 000000005D34: BF8CC07F
	s_barrier                                                  // 000000005D38: BF8A0000
	ds_read_b64 v[88:89], v12 offset:6272                      // 000000005D3C: D8EC1880 5800000C
	ds_read_b64 v[90:91], v12 offset:6400                      // 000000005D44: D8EC1900 5A00000C
	ds_read_b64 v[92:93], v12 offset:6528                      // 000000005D4C: D8EC1980 5C00000C
	ds_read_b64 v[94:95], v12 offset:6656                      // 000000005D54: D8EC1A00 5E00000C
	ds_read_b64 v[96:97], v12 offset:8320                      // 000000005D5C: D8EC2080 6000000C
	ds_read_b64 v[98:99], v12 offset:8448                      // 000000005D64: D8EC2100 6200000C
	ds_read_b64 v[100:101], v12 offset:8576                    // 000000005D6C: D8EC2180 6400000C
	ds_read_b64 v[102:103], v12 offset:8704                    // 000000005D74: D8EC2200 6600000C
	s_waitcnt vmcnt(0)                                         // 000000005D7C: BF8C0F70
	v_cvt_pk_f32_fp8_sdwa v[38:39], v208 src0_sel:WORD_0       // 000000005D80: 7E4CACF9 000406D0
	v_cvt_pk_f32_fp8_sdwa v[40:41], v208 src0_sel:WORD_1       // 000000005D88: 7E50ACF9 000506D0
	v_perm_b32 v192, v39, v38, s52                             // 000000005D90: D1ED00C0 00D24D27
	v_perm_b32 v193, v41, v40, s52                             // 000000005D98: D1ED00C1 00D25129
	v_cvt_pk_f32_fp8_sdwa v[38:39], v209 src0_sel:WORD_0       // 000000005DA0: 7E4CACF9 000406D1
	v_cvt_pk_f32_fp8_sdwa v[40:41], v209 src0_sel:WORD_1       // 000000005DA8: 7E50ACF9 000506D1
	v_perm_b32 v194, v39, v38, s52                             // 000000005DB0: D1ED00C2 00D24D27
	v_perm_b32 v195, v41, v40, s52                             // 000000005DB8: D1ED00C3 00D25129
	v_cvt_pk_f32_fp8_sdwa v[38:39], v210 src0_sel:WORD_0       // 000000005DC0: 7E4CACF9 000406D2
	v_cvt_pk_f32_fp8_sdwa v[40:41], v210 src0_sel:WORD_1       // 000000005DC8: 7E50ACF9 000506D2
	v_perm_b32 v196, v39, v38, s52                             // 000000005DD0: D1ED00C4 00D24D27
	v_perm_b32 v197, v41, v40, s52                             // 000000005DD8: D1ED00C5 00D25129
	v_cvt_pk_f32_fp8_sdwa v[38:39], v211 src0_sel:WORD_0       // 000000005DE0: 7E4CACF9 000406D3
	v_cvt_pk_f32_fp8_sdwa v[40:41], v211 src0_sel:WORD_1       // 000000005DE8: 7E50ACF9 000506D3
	v_perm_b32 v198, v39, v38, s52                             // 000000005DF0: D1ED00C6 00D24D27
	v_perm_b32 v199, v41, v40, s52                             // 000000005DF8: D1ED00C7 00D25129
	v_cvt_pk_f32_fp8_sdwa v[38:39], v212 src0_sel:WORD_0       // 000000005E00: 7E4CACF9 000406D4
	v_cvt_pk_f32_fp8_sdwa v[40:41], v212 src0_sel:WORD_1       // 000000005E08: 7E50ACF9 000506D4
	v_perm_b32 v200, v39, v38, s52                             // 000000005E10: D1ED00C8 00D24D27
	v_perm_b32 v201, v41, v40, s52                             // 000000005E18: D1ED00C9 00D25129
	v_cvt_pk_f32_fp8_sdwa v[38:39], v213 src0_sel:WORD_0       // 000000005E20: 7E4CACF9 000406D5
	v_cvt_pk_f32_fp8_sdwa v[40:41], v213 src0_sel:WORD_1       // 000000005E28: 7E50ACF9 000506D5
	v_perm_b32 v202, v39, v38, s52                             // 000000005E30: D1ED00CA 00D24D27
	v_perm_b32 v203, v41, v40, s52                             // 000000005E38: D1ED00CB 00D25129
	v_cvt_pk_f32_fp8_sdwa v[38:39], v214 src0_sel:WORD_0       // 000000005E40: 7E4CACF9 000406D6
	v_cvt_pk_f32_fp8_sdwa v[40:41], v214 src0_sel:WORD_1       // 000000005E48: 7E50ACF9 000506D6
	v_perm_b32 v204, v39, v38, s52                             // 000000005E50: D1ED00CC 00D24D27
	v_perm_b32 v205, v41, v40, s52                             // 000000005E58: D1ED00CD 00D25129
	v_cvt_pk_f32_fp8_sdwa v[38:39], v215 src0_sel:WORD_0       // 000000005E60: 7E4CACF9 000406D7
	v_cvt_pk_f32_fp8_sdwa v[40:41], v215 src0_sel:WORD_1       // 000000005E68: 7E50ACF9 000506D7
	v_perm_b32 v206, v39, v38, s52                             // 000000005E70: D1ED00CE 00D24D27
	v_perm_b32 v207, v41, v40, s52                             // 000000005E78: D1ED00CF 00D25129
	v_cvt_pk_f32_fp8_sdwa v[38:39], v216 src0_sel:WORD_0       // 000000005E80: 7E4CACF9 000406D8
	v_cvt_pk_f32_fp8_sdwa v[40:41], v216 src0_sel:WORD_1       // 000000005E88: 7E50ACF9 000506D8
	v_perm_b32 v208, v39, v38, s52                             // 000000005E90: D1ED00D0 00D24D27
	v_perm_b32 v209, v41, v40, s52                             // 000000005E98: D1ED00D1 00D25129
	v_cvt_pk_f32_fp8_sdwa v[38:39], v217 src0_sel:WORD_0       // 000000005EA0: 7E4CACF9 000406D9
	v_cvt_pk_f32_fp8_sdwa v[40:41], v217 src0_sel:WORD_1       // 000000005EA8: 7E50ACF9 000506D9
	v_perm_b32 v210, v39, v38, s52                             // 000000005EB0: D1ED00D2 00D24D27
	v_perm_b32 v211, v41, v40, s52                             // 000000005EB8: D1ED00D3 00D25129
	v_cvt_pk_f32_fp8_sdwa v[38:39], v218 src0_sel:WORD_0       // 000000005EC0: 7E4CACF9 000406DA
	v_cvt_pk_f32_fp8_sdwa v[40:41], v218 src0_sel:WORD_1       // 000000005EC8: 7E50ACF9 000506DA
	v_perm_b32 v212, v39, v38, s52                             // 000000005ED0: D1ED00D4 00D24D27
	v_perm_b32 v213, v41, v40, s52                             // 000000005ED8: D1ED00D5 00D25129
	v_cvt_pk_f32_fp8_sdwa v[38:39], v219 src0_sel:WORD_0       // 000000005EE0: 7E4CACF9 000406DB
	v_cvt_pk_f32_fp8_sdwa v[40:41], v219 src0_sel:WORD_1       // 000000005EE8: 7E50ACF9 000506DB
	v_perm_b32 v214, v39, v38, s52                             // 000000005EF0: D1ED00D6 00D24D27
	v_perm_b32 v215, v41, v40, s52                             // 000000005EF8: D1ED00D7 00D25129
	v_cvt_pk_f32_fp8_sdwa v[38:39], v220 src0_sel:WORD_0       // 000000005F00: 7E4CACF9 000406DC
	v_cvt_pk_f32_fp8_sdwa v[40:41], v220 src0_sel:WORD_1       // 000000005F08: 7E50ACF9 000506DC
	v_perm_b32 v216, v39, v38, s52                             // 000000005F10: D1ED00D8 00D24D27
	v_perm_b32 v217, v41, v40, s52                             // 000000005F18: D1ED00D9 00D25129
	v_cvt_pk_f32_fp8_sdwa v[38:39], v221 src0_sel:WORD_0       // 000000005F20: 7E4CACF9 000406DD
	v_cvt_pk_f32_fp8_sdwa v[40:41], v221 src0_sel:WORD_1       // 000000005F28: 7E50ACF9 000506DD
	v_perm_b32 v218, v39, v38, s52                             // 000000005F30: D1ED00DA 00D24D27
	v_perm_b32 v219, v41, v40, s52                             // 000000005F38: D1ED00DB 00D25129
	v_cvt_pk_f32_fp8_sdwa v[38:39], v222 src0_sel:WORD_0       // 000000005F40: 7E4CACF9 000406DE
	v_cvt_pk_f32_fp8_sdwa v[40:41], v222 src0_sel:WORD_1       // 000000005F48: 7E50ACF9 000506DE
	v_perm_b32 v220, v39, v38, s52                             // 000000005F50: D1ED00DC 00D24D27
	v_perm_b32 v221, v41, v40, s52                             // 000000005F58: D1ED00DD 00D25129
	v_cvt_pk_f32_fp8_sdwa v[38:39], v223 src0_sel:WORD_0       // 000000005F60: 7E4CACF9 000406DF
	v_cvt_pk_f32_fp8_sdwa v[40:41], v223 src0_sel:WORD_1       // 000000005F68: 7E50ACF9 000506DF
	v_perm_b32 v222, v39, v38, s52                             // 000000005F70: D1ED00DE 00D24D27
	v_perm_b32 v223, v41, v40, s52                             // 000000005F78: D1ED00DF 00D25129
	v_add_f32_e32 v112, v112, v104                             // 000000005F80: 02E0D170
	v_add_f32_e32 v113, v113, v105                             // 000000005F84: 02E2D371
	v_add_f32_e32 v114, v114, v106                             // 000000005F88: 02E4D572
	v_add_f32_e32 v115, v115, v107                             // 000000005F8C: 02E6D773
	s_waitcnt lgkmcnt(7)                                       // 000000005F90: BF8CC77F
	v_mov_b32_dpp v64, v88 row_shl:8 row_mask:0xf bank_mask:0xf bound_ctrl:1// 000000005F94: 7E8002FA FF090858
	v_and_b32_e32 v88, v88, v9                                 // 000000005F9C: 26B01358
	v_mov_b32_dpp v65, v89 row_shl:8 row_mask:0xf bank_mask:0xf bound_ctrl:1// 000000005FA0: 7E8202FA FF090859
	v_and_b32_e32 v89, v89, v9                                 // 000000005FA8: 26B21359
	s_waitcnt lgkmcnt(6)                                       // 000000005FAC: BF8CC67F
	v_mov_b32_dpp v66, v90 row_shl:8 row_mask:0xf bank_mask:0xf bound_ctrl:1// 000000005FB0: 7E8402FA FF09085A
	v_and_b32_e32 v90, v90, v9                                 // 000000005FB8: 26B4135A
	v_mov_b32_dpp v67, v91 row_shl:8 row_mask:0xf bank_mask:0xf bound_ctrl:1// 000000005FBC: 7E8602FA FF09085B
	v_and_b32_e32 v91, v91, v9                                 // 000000005FC4: 26B6135B
	s_waitcnt lgkmcnt(5)                                       // 000000005FC8: BF8CC57F
	v_mov_b32_dpp v68, v92 row_shl:8 row_mask:0xf bank_mask:0xf bound_ctrl:1// 000000005FCC: 7E8802FA FF09085C
	v_and_b32_e32 v92, v92, v9                                 // 000000005FD4: 26B8135C
	v_mov_b32_dpp v69, v93 row_shl:8 row_mask:0xf bank_mask:0xf bound_ctrl:1// 000000005FD8: 7E8A02FA FF09085D
	v_and_b32_e32 v93, v93, v9                                 // 000000005FE0: 26BA135D
	s_waitcnt lgkmcnt(4)                                       // 000000005FE4: BF8CC47F
	v_mov_b32_dpp v70, v94 row_shl:8 row_mask:0xf bank_mask:0xf bound_ctrl:1// 000000005FE8: 7E8C02FA FF09085E
	v_and_b32_e32 v94, v94, v9                                 // 000000005FF0: 26BC135E
	v_mov_b32_dpp v71, v95 row_shl:8 row_mask:0xf bank_mask:0xf bound_ctrl:1// 000000005FF4: 7E8E02FA FF09085F
	v_and_b32_e32 v95, v95, v9                                 // 000000005FFC: 26BE135F
	s_waitcnt lgkmcnt(3)                                       // 000000006000: BF8CC37F
	v_mov_b32_dpp v72, v96 row_shl:8 row_mask:0xf bank_mask:0xf bound_ctrl:1// 000000006004: 7E9002FA FF090860
	v_and_b32_e32 v96, v96, v9                                 // 00000000600C: 26C01360
	v_mov_b32_dpp v73, v97 row_shl:8 row_mask:0xf bank_mask:0xf bound_ctrl:1// 000000006010: 7E9202FA FF090861
	v_and_b32_e32 v97, v97, v9                                 // 000000006018: 26C21361
	s_waitcnt lgkmcnt(2)                                       // 00000000601C: BF8CC27F
	v_mov_b32_dpp v74, v98 row_shl:8 row_mask:0xf bank_mask:0xf bound_ctrl:1// 000000006020: 7E9402FA FF090862
	v_and_b32_e32 v98, v98, v9                                 // 000000006028: 26C41362
	v_mov_b32_dpp v75, v99 row_shl:8 row_mask:0xf bank_mask:0xf bound_ctrl:1// 00000000602C: 7E9602FA FF090863
	v_and_b32_e32 v99, v99, v9                                 // 000000006034: 26C61363
	s_waitcnt lgkmcnt(1)                                       // 000000006038: BF8CC17F
	v_mov_b32_dpp v76, v100 row_shl:8 row_mask:0xf bank_mask:0xf bound_ctrl:1// 00000000603C: 7E9802FA FF090864
	v_and_b32_e32 v100, v100, v9                               // 000000006044: 26C81364
	v_mov_b32_dpp v77, v101 row_shl:8 row_mask:0xf bank_mask:0xf bound_ctrl:1// 000000006048: 7E9A02FA FF090865
	v_and_b32_e32 v101, v101, v9                               // 000000006050: 26CA1365
	s_waitcnt lgkmcnt(0)                                       // 000000006054: BF8CC07F
	v_mov_b32_dpp v78, v102 row_shl:8 row_mask:0xf bank_mask:0xf bound_ctrl:1// 000000006058: 7E9C02FA FF090866
	v_and_b32_e32 v102, v102, v9                               // 000000006060: 26CC1366
	v_mov_b32_dpp v79, v103 row_shl:8 row_mask:0xf bank_mask:0xf bound_ctrl:1// 000000006064: 7E9E02FA FF090867
	v_and_b32_e32 v103, v103, v9                               // 00000000606C: 26CE1367
	s_waitcnt vmcnt(0)                                         // 000000006070: BF8C0F70
	s_barrier                                                  // 000000006074: BF8A0000
	v_mfma_f32_16x16x16_bf16 v[104:107], v[128:129], v[88:89], 0// 000000006078: D3E10068 0202B180
	v_mfma_f32_16x16x16_bf16 v[104:107], v[130:131], v[90:91], v[104:107]// 000000006080: D3E10068 05A2B582
	v_mfma_f32_16x16x16_bf16 v[104:107], v[132:133], v[92:93], v[104:107]// 000000006088: D3E10068 05A2B984
	v_mfma_f32_16x16x16_bf16 v[104:107], v[134:135], v[94:95], v[104:107]// 000000006090: D3E10068 05A2BD86
	v_mfma_f32_16x16x16_bf16 v[104:107], v[136:137], v[96:97], v[104:107]// 000000006098: D3E10068 05A2C188
	v_mfma_f32_16x16x16_bf16 v[104:107], v[138:139], v[98:99], v[104:107]// 0000000060A0: D3E10068 05A2C58A
	v_mfma_f32_16x16x16_bf16 v[104:107], v[140:141], v[100:101], v[104:107]// 0000000060A8: D3E10068 05A2C98C
	v_mfma_f32_16x16x16_bf16 v[104:107], v[142:143], v[102:103], v[104:107]// 0000000060B0: D3E10068 05A2CD8E
	v_mfma_f32_16x16x16_bf16 v[104:107], v[144:145], v[64:65], v[104:107]// 0000000060B8: D3E10068 05A28190
	v_mfma_f32_16x16x16_bf16 v[104:107], v[146:147], v[66:67], v[104:107]// 0000000060C0: D3E10068 05A28592
	v_mfma_f32_16x16x16_bf16 v[104:107], v[148:149], v[68:69], v[104:107]// 0000000060C8: D3E10068 05A28994
	v_mfma_f32_16x16x16_bf16 v[104:107], v[150:151], v[70:71], v[104:107]// 0000000060D0: D3E10068 05A28D96
	v_mfma_f32_16x16x16_bf16 v[104:107], v[152:153], v[72:73], v[104:107]// 0000000060D8: D3E10068 05A29198
	v_mfma_f32_16x16x16_bf16 v[104:107], v[154:155], v[74:75], v[104:107]// 0000000060E0: D3E10068 05A2959A
	v_mfma_f32_16x16x16_bf16 v[104:107], v[156:157], v[76:77], v[104:107]// 0000000060E8: D3E10068 05A2999C
	v_mfma_f32_16x16x16_bf16 v[104:107], v[158:159], v[78:79], v[104:107]// 0000000060F0: D3E10068 05A29D9E
	v_mfma_f32_16x16x16_bf16 v[108:111], v[192:193], v[88:89], 0// 0000000060F8: D3E1006C 0202B1C0
	v_mfma_f32_16x16x16_bf16 v[108:111], v[194:195], v[90:91], v[108:111]// 000000006100: D3E1006C 05B2B5C2
	v_mfma_f32_16x16x16_bf16 v[108:111], v[196:197], v[92:93], v[108:111]// 000000006108: D3E1006C 05B2B9C4
	v_mfma_f32_16x16x16_bf16 v[108:111], v[198:199], v[94:95], v[108:111]// 000000006110: D3E1006C 05B2BDC6
	v_mfma_f32_16x16x16_bf16 v[108:111], v[200:201], v[96:97], v[108:111]// 000000006118: D3E1006C 05B2C1C8
	v_mfma_f32_16x16x16_bf16 v[108:111], v[202:203], v[98:99], v[108:111]// 000000006120: D3E1006C 05B2C5CA
	v_mfma_f32_16x16x16_bf16 v[108:111], v[204:205], v[100:101], v[108:111]// 000000006128: D3E1006C 05B2C9CC
	v_mfma_f32_16x16x16_bf16 v[108:111], v[206:207], v[102:103], v[108:111]// 000000006130: D3E1006C 05B2CDCE
	v_mfma_f32_16x16x16_bf16 v[108:111], v[208:209], v[64:65], v[108:111]// 000000006138: D3E1006C 05B281D0
	v_mfma_f32_16x16x16_bf16 v[108:111], v[210:211], v[66:67], v[108:111]// 000000006140: D3E1006C 05B285D2
	v_mfma_f32_16x16x16_bf16 v[108:111], v[212:213], v[68:69], v[108:111]// 000000006148: D3E1006C 05B289D4
	v_mfma_f32_16x16x16_bf16 v[108:111], v[214:215], v[70:71], v[108:111]// 000000006150: D3E1006C 05B28DD6
	v_mfma_f32_16x16x16_bf16 v[108:111], v[216:217], v[72:73], v[108:111]// 000000006158: D3E1006C 05B291D8
	v_mfma_f32_16x16x16_bf16 v[108:111], v[218:219], v[74:75], v[108:111]// 000000006160: D3E1006C 05B295DA
	v_mfma_f32_16x16x16_bf16 v[108:111], v[220:221], v[76:77], v[108:111]// 000000006168: D3E1006C 05B299DC
	v_mfma_f32_16x16x16_bf16 v[108:111], v[222:223], v[78:79], v[108:111]// 000000006170: D3E1006C 05B29DDE
	s_nop 4                                                    // 000000006178: BF800004
	s_branch label_12F4                                        // 00000000617C: BF8202D4

0000000000006180 <label_1020>:
	s_waitcnt vmcnt(8) lgkmcnt(0)                              // 000000006180: BF8C0078
	s_barrier                                                  // 000000006184: BF8A0000
	v_mfma_f32_16x16x32_fp8_fp8 v[88:91], v[160:161], v[80:81], 0// 000000006188: D3F30058 0202A1A0
	v_mfma_f32_16x16x32_fp8_fp8 v[88:91], v[162:163], v[82:83], v[88:91]// 000000006190: D3F30058 0562A5A2
	v_mfma_f32_16x16x32_fp8_fp8 v[88:91], v[164:165], v[84:85], v[88:91]// 000000006198: D3F30058 0562A9A4
	v_mfma_f32_16x16x32_fp8_fp8 v[88:91], v[166:167], v[86:87], v[88:91]// 0000000061A0: D3F30058 0562ADA6
	v_mfma_f32_16x16x32_fp8_fp8 v[92:95], v[168:169], v[80:81], 0// 0000000061A8: D3F3005C 0202A1A8
	v_mfma_f32_16x16x32_fp8_fp8 v[92:95], v[170:171], v[82:83], v[92:95]// 0000000061B0: D3F3005C 0572A5AA
	v_mfma_f32_16x16x32_fp8_fp8 v[92:95], v[172:173], v[84:85], v[92:95]// 0000000061B8: D3F3005C 0572A9AC
	v_mfma_f32_16x16x32_fp8_fp8 v[92:95], v[174:175], v[86:87], v[92:95]// 0000000061C0: D3F3005C 0572ADAE
	v_mfma_f32_16x16x32_fp8_fp8 v[96:99], v[176:177], v[80:81], 0// 0000000061C8: D3F30060 0202A1B0
	v_mfma_f32_16x16x32_fp8_fp8 v[96:99], v[178:179], v[82:83], v[96:99]// 0000000061D0: D3F30060 0582A5B2
	v_mfma_f32_16x16x32_fp8_fp8 v[96:99], v[180:181], v[84:85], v[96:99]// 0000000061D8: D3F30060 0582A9B4
	v_mfma_f32_16x16x32_fp8_fp8 v[96:99], v[182:183], v[86:87], v[96:99]// 0000000061E0: D3F30060 0582ADB6
	v_mfma_f32_16x16x32_fp8_fp8 v[100:103], v[184:185], v[80:81], 0// 0000000061E8: D3F30064 0202A1B8
	v_mfma_f32_16x16x32_fp8_fp8 v[100:103], v[186:187], v[82:83], v[100:103]// 0000000061F0: D3F30064 0592A5BA
	v_mfma_f32_16x16x32_fp8_fp8 v[100:103], v[188:189], v[84:85], v[100:103]// 0000000061F8: D3F30064 0592A9BC
	v_mfma_f32_16x16x32_fp8_fp8 v[100:103], v[190:191], v[86:87], v[100:103]// 000000006200: D3F30064 0592ADBE
	v_mov_b32_dpp v38, v45 row_shr:4 row_mask:0xf bank_mask:0xf// 000000006208: 7E4C02FA FF01142D
	v_mov_b32_dpp v39, v45 row_shl:4 row_mask:0xf bank_mask:0xf// 000000006210: 7E4E02FA FF01042D
	v_cndmask_b32_e64 v124, v45, v38, s[44:45]                 // 000000006218: D100007C 00B24D2D
	v_cndmask_b32_e64 v125, v39, v45, s[44:45]                 // 000000006220: D100007D 00B25B27
	v_mov_b32_dpp v38, v56 row_shr:4 row_mask:0xf bank_mask:0xf// 000000006228: 7E4C02FA FF011438
	v_mov_b32_dpp v39, v56 row_shl:4 row_mask:0xf bank_mask:0xf// 000000006230: 7E4E02FA FF010438
	v_cndmask_b32_e64 v126, v56, v38, s[44:45]                 // 000000006238: D100007E 00B24D38
	v_cndmask_b32_e64 v127, v39, v56, s[44:45]                 // 000000006240: D100007F 00B27127
	v_or_b32_dpp v88, v96, v88 row_shr:8 row_mask:0xf bank_mask:0xf bound_ctrl:1// 000000006248: 28B0B0FA FF091860
	v_or_b32_dpp v89, v97, v89 row_shr:8 row_mask:0xf bank_mask:0xf bound_ctrl:1// 000000006250: 28B2B2FA FF091861
	v_or_b32_dpp v90, v98, v90 row_shr:8 row_mask:0xf bank_mask:0xf bound_ctrl:1// 000000006258: 28B4B4FA FF091862
	v_or_b32_dpp v91, v99, v91 row_shr:8 row_mask:0xf bank_mask:0xf bound_ctrl:1// 000000006260: 28B6B6FA FF091863
	v_or_b32_dpp v92, v100, v92 row_shr:8 row_mask:0xf bank_mask:0xf bound_ctrl:1// 000000006268: 28B8B8FA FF091864
	v_or_b32_dpp v93, v101, v93 row_shr:8 row_mask:0xf bank_mask:0xf bound_ctrl:1// 000000006270: 28BABAFA FF091865
	v_or_b32_dpp v94, v102, v94 row_shr:8 row_mask:0xf bank_mask:0xf bound_ctrl:1// 000000006278: 28BCBCFA FF091866
	v_or_b32_dpp v95, v103, v95 row_shr:8 row_mask:0xf bank_mask:0xf bound_ctrl:1// 000000006280: 28BEBEFA FF091867
	v_mul_f32_e32 v88, v46, v88                                // 000000006288: 0AB0B12E
	v_mul_f32_e32 v89, v46, v89                                // 00000000628C: 0AB2B32E
	v_mul_f32_e32 v90, v46, v90                                // 000000006290: 0AB4B52E
	v_mul_f32_e32 v91, v46, v91                                // 000000006294: 0AB6B72E
	v_mul_f32_e32 v92, v46, v92                                // 000000006298: 0AB8B92E
	v_mul_f32_e32 v93, v46, v93                                // 00000000629C: 0ABABB2E
	v_mul_f32_e32 v94, v46, v94                                // 0000000062A0: 0ABCBD2E
	v_mul_f32_e32 v95, v46, v95                                // 0000000062A4: 0ABEBF2E
	v_mul_f32_dpp v88, v124, v88 quad_perm:[0,0,0,0] row_mask:0xf bank_mask:0xf// 0000000062A8: 0AB0B0FA FF00007C
	v_mul_f32_dpp v89, v124, v89 quad_perm:[1,1,1,1] row_mask:0xf bank_mask:0xf// 0000000062B0: 0AB2B2FA FF00557C
	v_mul_f32_dpp v90, v124, v90 quad_perm:[2,2,2,2] row_mask:0xf bank_mask:0xf// 0000000062B8: 0AB4B4FA FF00AA7C
	v_mul_f32_dpp v91, v124, v91 quad_perm:[3,3,3,3] row_mask:0xf bank_mask:0xf// 0000000062C0: 0AB6B6FA FF00FF7C
	v_mul_f32_dpp v92, v125, v92 quad_perm:[0,0,0,0] row_mask:0xf bank_mask:0xf// 0000000062C8: 0AB8B8FA FF00007D
	v_mul_f32_dpp v93, v125, v93 quad_perm:[1,1,1,1] row_mask:0xf bank_mask:0xf// 0000000062D0: 0ABABAFA FF00557D
	v_mul_f32_dpp v94, v125, v94 quad_perm:[2,2,2,2] row_mask:0xf bank_mask:0xf// 0000000062D8: 0ABCBCFA FF00AA7D
	v_mul_f32_dpp v95, v125, v95 quad_perm:[3,3,3,3] row_mask:0xf bank_mask:0xf// 0000000062E0: 0ABEBEFA FF00FF7D
	s_and_b32 s60, s72, 0xff                                   // 0000000062E8: 863CFF48 000000FF
	v_mov_b32_e32 v62, s60                                     // 0000000062F0: 7E7C023C
	v_lshrrev_b32_e32 v116, 4, v0                              // 0000000062F4: 20E80084
	v_mul_i32_i24_e32 v116, 4, v116                            // 0000000062F8: 0CE8E884
	v_and_b32_e32 v38, 15, v0                                  // 0000000062FC: 264C008F
	v_lshrrev_b32_e32 v38, 3, v38                              // 000000006300: 204C4C83
	v_mul_i32_i24_e32 v38, 0x80, v38                           // 000000006304: 0C4C4CFF 00000080
	v_add_u32_e32 v116, v38, v116                              // 00000000630C: 68E8E926
	s_mul_i32 s60, s7, 16                                      // 000000006310: 923C9007
	v_add_u32_e32 v116, s60, v116                              // 000000006314: 68E8E83C
	v_add_u32_e32 v117, 1, v116                                // 000000006318: 68EAE881
	v_add_u32_e32 v118, 2, v116                                // 00000000631C: 68ECE882
	v_add_u32_e32 v119, 3, v116                                // 000000006320: 68EEE883
	v_cmp_lt_u32_e64 s[40:41], v116, v62                       // 000000006324: D0C90028 00027D74
	v_add_u32_e32 v116, 64, v116                               // 00000000632C: 68E8E8C0
	s_nop 0                                                    // 000000006330: BF800000
	v_cndmask_b32_e64 v88, v52, v88, s[40:41]                  // 000000006334: D1000058 00A2B134
	v_cmp_lt_u32_e64 s[40:41], v117, v62                       // 00000000633C: D0C90028 00027D75
	v_add_u32_e32 v117, 64, v117                               // 000000006344: 68EAEAC0
	s_nop 0                                                    // 000000006348: BF800000
	v_cndmask_b32_e64 v89, v52, v89, s[40:41]                  // 00000000634C: D1000059 00A2B334
	v_cmp_lt_u32_e64 s[40:41], v118, v62                       // 000000006354: D0C90028 00027D76
	v_add_u32_e32 v118, 64, v118                               // 00000000635C: 68ECECC0
	s_nop 0                                                    // 000000006360: BF800000
	v_cndmask_b32_e64 v90, v52, v90, s[40:41]                  // 000000006364: D100005A 00A2B534
	v_cmp_lt_u32_e64 s[40:41], v119, v62                       // 00000000636C: D0C90028 00027D77
	v_add_u32_e32 v119, 64, v119                               // 000000006374: 68EEEEC0
	s_nop 0                                                    // 000000006378: BF800000
	v_cndmask_b32_e64 v91, v52, v91, s[40:41]                  // 00000000637C: D100005B 00A2B734
	v_cmp_lt_u32_e64 s[40:41], v116, v62                       // 000000006384: D0C90028 00027D74
	v_add_u32_e32 v116, 64, v116                               // 00000000638C: 68E8E8C0
	s_nop 0                                                    // 000000006390: BF800000
	v_cndmask_b32_e64 v92, v52, v92, s[40:41]                  // 000000006394: D100005C 00A2B934
	v_cmp_lt_u32_e64 s[40:41], v117, v62                       // 00000000639C: D0C90028 00027D75
	v_add_u32_e32 v117, 64, v117                               // 0000000063A4: 68EAEAC0
	s_nop 0                                                    // 0000000063A8: BF800000
	v_cndmask_b32_e64 v93, v52, v93, s[40:41]                  // 0000000063AC: D100005D 00A2BB34
	v_cmp_lt_u32_e64 s[40:41], v118, v62                       // 0000000063B4: D0C90028 00027D76
	v_add_u32_e32 v118, 64, v118                               // 0000000063BC: 68ECECC0
	s_nop 0                                                    // 0000000063C0: BF800000
	v_cndmask_b32_e64 v94, v52, v94, s[40:41]                  // 0000000063C4: D100005E 00A2BD34
	v_cmp_lt_u32_e64 s[40:41], v119, v62                       // 0000000063CC: D0C90028 00027D77
	v_add_u32_e32 v119, 64, v119                               // 0000000063D4: 68EEEEC0
	s_nop 0                                                    // 0000000063D8: BF800000
	v_cndmask_b32_e64 v95, v52, v95, s[40:41]                  // 0000000063DC: D100005F 00A2BF34
	v_mov_b32_e32 v48, v88                                     // 0000000063E4: 7E600358
	v_max3_f32 v48, v88, v89, v48                              // 0000000063E8: D1D30030 04C2B358
	v_max3_f32 v48, v90, v91, v48                              // 0000000063F0: D1D30030 04C2B75A
	v_max3_f32 v48, v92, v93, v48                              // 0000000063F8: D1D30030 04C2BB5C
	v_max3_f32 v48, v94, v95, v48                              // 000000006400: D1D30030 04C2BF5E
	ds_write_b32 v11, v48 offset:4224                          // 000000006408: D81A1080 0000300B
	v_mul_u32_u24_dpp v38, v16, v51 row_newbcast:1 row_mask:0xf bank_mask:0xf// 000000006410: 104C66FA FF015110
	v_mul_u32_u24_dpp v39, v16, v51 row_newbcast:5 row_mask:0xf bank_mask:0xf// 000000006418: 104E66FA FF015510
	v_mul_u32_u24_dpp v40, v16, v51 row_newbcast:9 row_mask:0xf bank_mask:0xf// 000000006420: 105066FA FF015910
	v_mul_u32_u24_dpp v41, v16, v51 row_newbcast:13 row_mask:0xf bank_mask:0xf// 000000006428: 105266FA FF015D10
	v_add_u32_e32 v30, v38, v7                                 // 000000006430: 683C0F26
	v_add_u32_e32 v31, v39, v7                                 // 000000006434: 683E0F27
	v_add_u32_e32 v32, v40, v7                                 // 000000006438: 68400F28
	v_add_u32_e32 v33, v41, v7                                 // 00000000643C: 68420F29
	s_waitcnt lgkmcnt(0)                                       // 000000006440: BF8CC07F
	s_barrier                                                  // 000000006444: BF8A0000
	ds_read_b32 v64, v10 offset:4224                           // 000000006448: D86C1080 4000000A
	ds_read_b32 v65, v10 offset:4288                           // 000000006450: D86C10C0 4100000A
	ds_read_b32 v66, v10 offset:4352                           // 000000006458: D86C1100 4200000A
	ds_read_b32 v67, v10 offset:4416                           // 000000006460: D86C1140 4300000A
	ds_read_b32 v68, v10 offset:4480                           // 000000006468: D86C1180 4400000A
	ds_read_b32 v69, v10 offset:4544                           // 000000006470: D86C11C0 4500000A
	ds_read_b32 v70, v10 offset:4608                           // 000000006478: D86C1200 4600000A
	ds_read_b32 v71, v10 offset:4672                           // 000000006480: D86C1240 4700000A
	ds_read_b32 v72, v10 offset:4736                           // 000000006488: D86C1280 4800000A
	ds_read_b32 v73, v10 offset:4800                           // 000000006490: D86C12C0 4900000A
	ds_read_b32 v74, v10 offset:4864                           // 000000006498: D86C1300 4A00000A
	ds_read_b32 v75, v10 offset:4928                           // 0000000064A0: D86C1340 4B00000A
	ds_read_b32 v76, v10 offset:4992                           // 0000000064A8: D86C1380 4C00000A
	ds_read_b32 v77, v10 offset:5056                           // 0000000064B0: D86C13C0 4D00000A
	ds_read_b32 v78, v10 offset:5120                           // 0000000064B8: D86C1400 4E00000A
	ds_read_b32 v79, v10 offset:5184                           // 0000000064C0: D86C1440 4F00000A
	v_mul_f32_e32 v112, v49, v112                              // 0000000064C8: 0AE0E131
	v_mul_f32_e32 v113, v49, v113                              // 0000000064CC: 0AE2E331
	v_mul_f32_e32 v114, v49, v114                              // 0000000064D0: 0AE4E531
	v_mul_f32_e32 v115, v49, v115                              // 0000000064D4: 0AE6E731
	v_or_b32_dpp v104, v108, v104 row_shr:8 row_mask:0xf bank_mask:0xf bound_ctrl:1// 0000000064D8: 28D0D0FA FF09186C
	v_or_b32_dpp v105, v109, v105 row_shr:8 row_mask:0xf bank_mask:0xf bound_ctrl:1// 0000000064E0: 28D2D2FA FF09186D
	v_or_b32_dpp v106, v110, v106 row_shr:8 row_mask:0xf bank_mask:0xf bound_ctrl:1// 0000000064E8: 28D4D4FA FF09186E
	v_or_b32_dpp v107, v111, v107 row_shr:8 row_mask:0xf bank_mask:0xf bound_ctrl:1// 0000000064F0: 28D6D6FA FF09186F
	s_waitcnt lgkmcnt(0)                                       // 0000000064F8: BF8CC07F
	v_max3_f32 v48, v64, v65, v48                              // 0000000064FC: D1D30030 04C28340
	v_max3_f32 v48, v66, v67, v48                              // 000000006504: D1D30030 04C28742
	v_max3_f32 v48, v68, v69, v48                              // 00000000650C: D1D30030 04C28B44
	v_max3_f32 v48, v70, v71, v48                              // 000000006514: D1D30030 04C28F46
	v_max3_f32 v48, v72, v73, v48                              // 00000000651C: D1D30030 04C29348
	v_max3_f32 v48, v74, v75, v48                              // 000000006524: D1D30030 04C2974A
	v_max3_f32 v48, v76, v77, v48                              // 00000000652C: D1D30030 04C29B4C
	v_max3_f32 v48, v78, v79, v48                              // 000000006534: D1D30030 04C29F4E
	v_cmp_eq_u32_e64 s[40:41], v52, v14                        // 00000000653C: D0CA0028 00021D34
	s_nop 1                                                    // 000000006544: BF800001
	v_mov_b32_dpp v38, v48 row_ror:8 row_mask:0xf bank_mask:0xf// 000000006548: 7E4C02FA FF012830
	v_max_f32_e32 v48, v48, v38                                // 000000006550: 16604D30
	v_max_f32_e32 v15, v48, v14                                // 000000006554: 161E1D30
	v_mul_f32_e32 v50, s64, v15                                // 000000006558: 0A641E40
	v_fma_f32 v88, v88, s64, -v50                              // 00000000655C: D1CB0058 84C88158
	v_fma_f32 v89, v89, s64, -v50                              // 000000006564: D1CB0059 84C88159
	v_fma_f32 v90, v90, s64, -v50                              // 00000000656C: D1CB005A 84C8815A
	v_fma_f32 v91, v91, s64, -v50                              // 000000006574: D1CB005B 84C8815B
	v_fma_f32 v92, v92, s64, -v50                              // 00000000657C: D1CB005C 84C8815C
	v_fma_f32 v93, v93, s64, -v50                              // 000000006584: D1CB005D 84C8815D
	v_fma_f32 v94, v94, s64, -v50                              // 00000000658C: D1CB005E 84C8815E
	v_fma_f32 v95, v95, s64, -v50                              // 000000006594: D1CB005F 84C8815F
	v_exp_f32_e32 v88, v88                                     // 00000000659C: 7EB04158
	v_exp_f32_e32 v89, v89                                     // 0000000065A0: 7EB24159
	v_exp_f32_e32 v90, v90                                     // 0000000065A4: 7EB4415A
	v_exp_f32_e32 v91, v91                                     // 0000000065A8: 7EB6415B
	v_exp_f32_e32 v92, v92                                     // 0000000065AC: 7EB8415C
	v_exp_f32_e32 v93, v93                                     // 0000000065B0: 7EBA415D
	v_exp_f32_e32 v94, v94                                     // 0000000065B4: 7EBC415E
	v_exp_f32_e32 v95, v95                                     // 0000000065B8: 7EBE415F
	v_mul_f32_dpp v116, v126, v88 quad_perm:[0,0,0,0] row_mask:0xf bank_mask:0xf// 0000000065BC: 0AE8B0FA FF00007E
	v_mul_f32_dpp v117, v126, v89 quad_perm:[1,1,1,1] row_mask:0xf bank_mask:0xf// 0000000065C4: 0AEAB2FA FF00557E
	v_mul_f32_dpp v118, v126, v90 quad_perm:[2,2,2,2] row_mask:0xf bank_mask:0xf// 0000000065CC: 0AECB4FA FF00AA7E
	v_mul_f32_dpp v119, v126, v91 quad_perm:[3,3,3,3] row_mask:0xf bank_mask:0xf// 0000000065D4: 0AEEB6FA FF00FF7E
	v_mul_f32_dpp v120, v127, v92 quad_perm:[0,0,0,0] row_mask:0xf bank_mask:0xf// 0000000065DC: 0AF0B8FA FF00007F
	v_mul_f32_dpp v121, v127, v93 quad_perm:[1,1,1,1] row_mask:0xf bank_mask:0xf// 0000000065E4: 0AF2BAFA FF00557F
	v_mul_f32_dpp v122, v127, v94 quad_perm:[2,2,2,2] row_mask:0xf bank_mask:0xf// 0000000065EC: 0AF4BCFA FF00AA7F
	v_mul_f32_dpp v123, v127, v95 quad_perm:[3,3,3,3] row_mask:0xf bank_mask:0xf// 0000000065F4: 0AF6BEFA FF00FF7F
	v_sub_f32_e32 v49, v14, v15                                // 0000000065FC: 04621F0E
	v_cndmask_b32_e64 v49, v49, 0, s[40:41]                    // 000000006600: D1000031 00A10131
	v_mov_b32_e32 v14, v15                                     // 000000006608: 7E1C030F
	v_mul_f32_e32 v49, s64, v49                                // 00000000660C: 0A626240
	v_exp_f32_e32 v49, v49                                     // 000000006610: 7E624131
	s_nop 2                                                    // 000000006614: BF800002
	v_mul_f32_e32 v42, v49, v42                                // 000000006618: 0A545531
	v_mov_b32_e32 v43, v88                                     // 00000000661C: 7E560358
	v_add_f32_e32 v43, v89, v43                                // 000000006620: 02565759
	v_add_f32_e32 v43, v90, v43                                // 000000006624: 0256575A
	v_add_f32_e32 v43, v91, v43                                // 000000006628: 0256575B
	v_add_f32_e32 v43, v92, v43                                // 00000000662C: 0256575C
	v_add_f32_e32 v43, v93, v43                                // 000000006630: 0256575D
	v_add_f32_e32 v43, v94, v43                                // 000000006634: 0256575E
	v_add_f32_e32 v43, v95, v43                                // 000000006638: 0256575F
	v_add_f32_e32 v42, v43, v42                                // 00000000663C: 0254552B
	v_perm_b32 v88, v117, v116, s52                            // 000000006640: D1ED0058 00D2E975
	v_perm_b32 v89, v119, v118, s52                            // 000000006648: D1ED0059 00D2ED77
	v_perm_b32 v90, v121, v120, s52                            // 000000006650: D1ED005A 00D2F179
	v_perm_b32 v91, v123, v122, s52                            // 000000006658: D1ED005B 00D2F57B
	s_nop 2                                                    // 000000006660: BF800002
	v_mov_b32_dpp v38, v48 row_ror:8 row_mask:0xf bank_mask:0xf// 000000006664: 7E4C02FA FF012830
	v_max_f32_e32 v48, v48, v38                                // 00000000666C: 16604D30
	ds_write_b64 v13, v[88:89] offset:6272                     // 000000006670: D89A1880 0000580D
	ds_write_b64 v13, v[90:91] offset:8320                     // 000000006678: D89A2080 00005A0D
	s_waitcnt vmcnt(4)                                         // 000000006680: BF8C0F74
	v_cvt_pk_f32_fp8_sdwa v[38:39], v224 src0_sel:WORD_0       // 000000006684: 7E4CACF9 000406E0
	v_cvt_pk_f32_fp8_sdwa v[40:41], v224 src0_sel:WORD_1       // 00000000668C: 7E50ACF9 000506E0
	v_perm_b32 v160, v39, v38, s52                             // 000000006694: D1ED00A0 00D24D27
	v_perm_b32 v161, v41, v40, s52                             // 00000000669C: D1ED00A1 00D25129
	v_cvt_pk_f32_fp8_sdwa v[38:39], v225 src0_sel:WORD_0       // 0000000066A4: 7E4CACF9 000406E1
	v_cvt_pk_f32_fp8_sdwa v[40:41], v225 src0_sel:WORD_1       // 0000000066AC: 7E50ACF9 000506E1
	v_perm_b32 v162, v39, v38, s52                             // 0000000066B4: D1ED00A2 00D24D27
	v_perm_b32 v163, v41, v40, s52                             // 0000000066BC: D1ED00A3 00D25129
	v_cvt_pk_f32_fp8_sdwa v[38:39], v226 src0_sel:WORD_0       // 0000000066C4: 7E4CACF9 000406E2
	v_cvt_pk_f32_fp8_sdwa v[40:41], v226 src0_sel:WORD_1       // 0000000066CC: 7E50ACF9 000506E2
	v_perm_b32 v164, v39, v38, s52                             // 0000000066D4: D1ED00A4 00D24D27
	v_perm_b32 v165, v41, v40, s52                             // 0000000066DC: D1ED00A5 00D25129
	v_cvt_pk_f32_fp8_sdwa v[38:39], v227 src0_sel:WORD_0       // 0000000066E4: 7E4CACF9 000406E3
	v_cvt_pk_f32_fp8_sdwa v[40:41], v227 src0_sel:WORD_1       // 0000000066EC: 7E50ACF9 000506E3
	v_perm_b32 v166, v39, v38, s52                             // 0000000066F4: D1ED00A6 00D24D27
	v_perm_b32 v167, v41, v40, s52                             // 0000000066FC: D1ED00A7 00D25129
	v_cvt_pk_f32_fp8_sdwa v[38:39], v228 src0_sel:WORD_0       // 000000006704: 7E4CACF9 000406E4
	v_cvt_pk_f32_fp8_sdwa v[40:41], v228 src0_sel:WORD_1       // 00000000670C: 7E50ACF9 000506E4
	v_perm_b32 v168, v39, v38, s52                             // 000000006714: D1ED00A8 00D24D27
	v_perm_b32 v169, v41, v40, s52                             // 00000000671C: D1ED00A9 00D25129
	v_cvt_pk_f32_fp8_sdwa v[38:39], v229 src0_sel:WORD_0       // 000000006724: 7E4CACF9 000406E5
	v_cvt_pk_f32_fp8_sdwa v[40:41], v229 src0_sel:WORD_1       // 00000000672C: 7E50ACF9 000506E5
	v_perm_b32 v170, v39, v38, s52                             // 000000006734: D1ED00AA 00D24D27
	v_perm_b32 v171, v41, v40, s52                             // 00000000673C: D1ED00AB 00D25129
	v_cvt_pk_f32_fp8_sdwa v[38:39], v230 src0_sel:WORD_0       // 000000006744: 7E4CACF9 000406E6
	v_cvt_pk_f32_fp8_sdwa v[40:41], v230 src0_sel:WORD_1       // 00000000674C: 7E50ACF9 000506E6
	v_perm_b32 v172, v39, v38, s52                             // 000000006754: D1ED00AC 00D24D27
	v_perm_b32 v173, v41, v40, s52                             // 00000000675C: D1ED00AD 00D25129
	v_cvt_pk_f32_fp8_sdwa v[38:39], v231 src0_sel:WORD_0       // 000000006764: 7E4CACF9 000406E7
	v_cvt_pk_f32_fp8_sdwa v[40:41], v231 src0_sel:WORD_1       // 00000000676C: 7E50ACF9 000506E7
	v_perm_b32 v174, v39, v38, s52                             // 000000006774: D1ED00AE 00D24D27
	v_perm_b32 v175, v41, v40, s52                             // 00000000677C: D1ED00AF 00D25129
	v_cvt_pk_f32_fp8_sdwa v[38:39], v232 src0_sel:WORD_0       // 000000006784: 7E4CACF9 000406E8
	v_cvt_pk_f32_fp8_sdwa v[40:41], v232 src0_sel:WORD_1       // 00000000678C: 7E50ACF9 000506E8
	v_perm_b32 v176, v39, v38, s52                             // 000000006794: D1ED00B0 00D24D27
	v_perm_b32 v177, v41, v40, s52                             // 00000000679C: D1ED00B1 00D25129
	v_cvt_pk_f32_fp8_sdwa v[38:39], v233 src0_sel:WORD_0       // 0000000067A4: 7E4CACF9 000406E9
	v_cvt_pk_f32_fp8_sdwa v[40:41], v233 src0_sel:WORD_1       // 0000000067AC: 7E50ACF9 000506E9
	v_perm_b32 v178, v39, v38, s52                             // 0000000067B4: D1ED00B2 00D24D27
	v_perm_b32 v179, v41, v40, s52                             // 0000000067BC: D1ED00B3 00D25129
	v_cvt_pk_f32_fp8_sdwa v[38:39], v234 src0_sel:WORD_0       // 0000000067C4: 7E4CACF9 000406EA
	v_cvt_pk_f32_fp8_sdwa v[40:41], v234 src0_sel:WORD_1       // 0000000067CC: 7E50ACF9 000506EA
	v_perm_b32 v180, v39, v38, s52                             // 0000000067D4: D1ED00B4 00D24D27
	v_perm_b32 v181, v41, v40, s52                             // 0000000067DC: D1ED00B5 00D25129
	v_cvt_pk_f32_fp8_sdwa v[38:39], v235 src0_sel:WORD_0       // 0000000067E4: 7E4CACF9 000406EB
	v_cvt_pk_f32_fp8_sdwa v[40:41], v235 src0_sel:WORD_1       // 0000000067EC: 7E50ACF9 000506EB
	v_perm_b32 v182, v39, v38, s52                             // 0000000067F4: D1ED00B6 00D24D27
	v_perm_b32 v183, v41, v40, s52                             // 0000000067FC: D1ED00B7 00D25129
	v_cvt_pk_f32_fp8_sdwa v[38:39], v236 src0_sel:WORD_0       // 000000006804: 7E4CACF9 000406EC
	v_cvt_pk_f32_fp8_sdwa v[40:41], v236 src0_sel:WORD_1       // 00000000680C: 7E50ACF9 000506EC
	v_perm_b32 v184, v39, v38, s52                             // 000000006814: D1ED00B8 00D24D27
	v_perm_b32 v185, v41, v40, s52                             // 00000000681C: D1ED00B9 00D25129
	v_cvt_pk_f32_fp8_sdwa v[38:39], v237 src0_sel:WORD_0       // 000000006824: 7E4CACF9 000406ED
	v_cvt_pk_f32_fp8_sdwa v[40:41], v237 src0_sel:WORD_1       // 00000000682C: 7E50ACF9 000506ED
	v_perm_b32 v186, v39, v38, s52                             // 000000006834: D1ED00BA 00D24D27
	v_perm_b32 v187, v41, v40, s52                             // 00000000683C: D1ED00BB 00D25129
	v_cvt_pk_f32_fp8_sdwa v[38:39], v238 src0_sel:WORD_0       // 000000006844: 7E4CACF9 000406EE
	v_cvt_pk_f32_fp8_sdwa v[40:41], v238 src0_sel:WORD_1       // 00000000684C: 7E50ACF9 000506EE
	v_perm_b32 v188, v39, v38, s52                             // 000000006854: D1ED00BC 00D24D27
	v_perm_b32 v189, v41, v40, s52                             // 00000000685C: D1ED00BD 00D25129
	v_cvt_pk_f32_fp8_sdwa v[38:39], v239 src0_sel:WORD_0       // 000000006864: 7E4CACF9 000406EF
	v_cvt_pk_f32_fp8_sdwa v[40:41], v239 src0_sel:WORD_1       // 00000000686C: 7E50ACF9 000506EF
	v_perm_b32 v190, v39, v38, s52                             // 000000006874: D1ED00BE 00D24D27
	v_perm_b32 v191, v41, v40, s52                             // 00000000687C: D1ED00BF 00D25129
	s_waitcnt lgkmcnt(0)                                       // 000000006884: BF8CC07F
	s_barrier                                                  // 000000006888: BF8A0000
	ds_read_b64 v[88:89], v12 offset:6272                      // 00000000688C: D8EC1880 5800000C
	ds_read_b64 v[90:91], v12 offset:6400                      // 000000006894: D8EC1900 5A00000C
	ds_read_b64 v[92:93], v12 offset:6528                      // 00000000689C: D8EC1980 5C00000C
	ds_read_b64 v[94:95], v12 offset:6656                      // 0000000068A4: D8EC1A00 5E00000C
	ds_read_b64 v[96:97], v12 offset:8320                      // 0000000068AC: D8EC2080 6000000C
	ds_read_b64 v[98:99], v12 offset:8448                      // 0000000068B4: D8EC2100 6200000C
	ds_read_b64 v[100:101], v12 offset:8576                    // 0000000068BC: D8EC2180 6400000C
	ds_read_b64 v[102:103], v12 offset:8704                    // 0000000068C4: D8EC2200 6600000C
	s_waitcnt vmcnt(0)                                         // 0000000068CC: BF8C0F70
	v_cvt_pk_f32_fp8_sdwa v[38:39], v240 src0_sel:WORD_0       // 0000000068D0: 7E4CACF9 000406F0
	v_cvt_pk_f32_fp8_sdwa v[40:41], v240 src0_sel:WORD_1       // 0000000068D8: 7E50ACF9 000506F0
	v_perm_b32 v224, v39, v38, s52                             // 0000000068E0: D1ED00E0 00D24D27
	v_perm_b32 v225, v41, v40, s52                             // 0000000068E8: D1ED00E1 00D25129
	v_cvt_pk_f32_fp8_sdwa v[38:39], v241 src0_sel:WORD_0       // 0000000068F0: 7E4CACF9 000406F1
	v_cvt_pk_f32_fp8_sdwa v[40:41], v241 src0_sel:WORD_1       // 0000000068F8: 7E50ACF9 000506F1
	v_perm_b32 v226, v39, v38, s52                             // 000000006900: D1ED00E2 00D24D27
	v_perm_b32 v227, v41, v40, s52                             // 000000006908: D1ED00E3 00D25129
	v_cvt_pk_f32_fp8_sdwa v[38:39], v242 src0_sel:WORD_0       // 000000006910: 7E4CACF9 000406F2
	v_cvt_pk_f32_fp8_sdwa v[40:41], v242 src0_sel:WORD_1       // 000000006918: 7E50ACF9 000506F2
	v_perm_b32 v228, v39, v38, s52                             // 000000006920: D1ED00E4 00D24D27
	v_perm_b32 v229, v41, v40, s52                             // 000000006928: D1ED00E5 00D25129
	v_cvt_pk_f32_fp8_sdwa v[38:39], v243 src0_sel:WORD_0       // 000000006930: 7E4CACF9 000406F3
	v_cvt_pk_f32_fp8_sdwa v[40:41], v243 src0_sel:WORD_1       // 000000006938: 7E50ACF9 000506F3
	v_perm_b32 v230, v39, v38, s52                             // 000000006940: D1ED00E6 00D24D27
	v_perm_b32 v231, v41, v40, s52                             // 000000006948: D1ED00E7 00D25129
	v_cvt_pk_f32_fp8_sdwa v[38:39], v244 src0_sel:WORD_0       // 000000006950: 7E4CACF9 000406F4
	v_cvt_pk_f32_fp8_sdwa v[40:41], v244 src0_sel:WORD_1       // 000000006958: 7E50ACF9 000506F4
	v_perm_b32 v232, v39, v38, s52                             // 000000006960: D1ED00E8 00D24D27
	v_perm_b32 v233, v41, v40, s52                             // 000000006968: D1ED00E9 00D25129
	v_cvt_pk_f32_fp8_sdwa v[38:39], v245 src0_sel:WORD_0       // 000000006970: 7E4CACF9 000406F5
	v_cvt_pk_f32_fp8_sdwa v[40:41], v245 src0_sel:WORD_1       // 000000006978: 7E50ACF9 000506F5
	v_perm_b32 v234, v39, v38, s52                             // 000000006980: D1ED00EA 00D24D27
	v_perm_b32 v235, v41, v40, s52                             // 000000006988: D1ED00EB 00D25129
	v_cvt_pk_f32_fp8_sdwa v[38:39], v246 src0_sel:WORD_0       // 000000006990: 7E4CACF9 000406F6
	v_cvt_pk_f32_fp8_sdwa v[40:41], v246 src0_sel:WORD_1       // 000000006998: 7E50ACF9 000506F6
	v_perm_b32 v236, v39, v38, s52                             // 0000000069A0: D1ED00EC 00D24D27
	v_perm_b32 v237, v41, v40, s52                             // 0000000069A8: D1ED00ED 00D25129
	v_cvt_pk_f32_fp8_sdwa v[38:39], v247 src0_sel:WORD_0       // 0000000069B0: 7E4CACF9 000406F7
	v_cvt_pk_f32_fp8_sdwa v[40:41], v247 src0_sel:WORD_1       // 0000000069B8: 7E50ACF9 000506F7
	v_perm_b32 v238, v39, v38, s52                             // 0000000069C0: D1ED00EE 00D24D27
	v_perm_b32 v239, v41, v40, s52                             // 0000000069C8: D1ED00EF 00D25129
	v_cvt_pk_f32_fp8_sdwa v[38:39], v248 src0_sel:WORD_0       // 0000000069D0: 7E4CACF9 000406F8
	v_cvt_pk_f32_fp8_sdwa v[40:41], v248 src0_sel:WORD_1       // 0000000069D8: 7E50ACF9 000506F8
	v_perm_b32 v240, v39, v38, s52                             // 0000000069E0: D1ED00F0 00D24D27
	v_perm_b32 v241, v41, v40, s52                             // 0000000069E8: D1ED00F1 00D25129
	v_cvt_pk_f32_fp8_sdwa v[38:39], v249 src0_sel:WORD_0       // 0000000069F0: 7E4CACF9 000406F9
	v_cvt_pk_f32_fp8_sdwa v[40:41], v249 src0_sel:WORD_1       // 0000000069F8: 7E50ACF9 000506F9
	v_perm_b32 v242, v39, v38, s52                             // 000000006A00: D1ED00F2 00D24D27
	v_perm_b32 v243, v41, v40, s52                             // 000000006A08: D1ED00F3 00D25129
	v_cvt_pk_f32_fp8_sdwa v[38:39], v250 src0_sel:WORD_0       // 000000006A10: 7E4CACF9 000406FA
	v_cvt_pk_f32_fp8_sdwa v[40:41], v250 src0_sel:WORD_1       // 000000006A18: 7E50ACF9 000506FA
	v_perm_b32 v244, v39, v38, s52                             // 000000006A20: D1ED00F4 00D24D27
	v_perm_b32 v245, v41, v40, s52                             // 000000006A28: D1ED00F5 00D25129
	v_cvt_pk_f32_fp8_sdwa v[38:39], v251 src0_sel:WORD_0       // 000000006A30: 7E4CACF9 000406FB
	v_cvt_pk_f32_fp8_sdwa v[40:41], v251 src0_sel:WORD_1       // 000000006A38: 7E50ACF9 000506FB
	v_perm_b32 v246, v39, v38, s52                             // 000000006A40: D1ED00F6 00D24D27
	v_perm_b32 v247, v41, v40, s52                             // 000000006A48: D1ED00F7 00D25129
	v_cvt_pk_f32_fp8_sdwa v[38:39], v252 src0_sel:WORD_0       // 000000006A50: 7E4CACF9 000406FC
	v_cvt_pk_f32_fp8_sdwa v[40:41], v252 src0_sel:WORD_1       // 000000006A58: 7E50ACF9 000506FC
	v_perm_b32 v248, v39, v38, s52                             // 000000006A60: D1ED00F8 00D24D27
	v_perm_b32 v249, v41, v40, s52                             // 000000006A68: D1ED00F9 00D25129
	v_cvt_pk_f32_fp8_sdwa v[38:39], v253 src0_sel:WORD_0       // 000000006A70: 7E4CACF9 000406FD
	v_cvt_pk_f32_fp8_sdwa v[40:41], v253 src0_sel:WORD_1       // 000000006A78: 7E50ACF9 000506FD
	v_perm_b32 v250, v39, v38, s52                             // 000000006A80: D1ED00FA 00D24D27
	v_perm_b32 v251, v41, v40, s52                             // 000000006A88: D1ED00FB 00D25129
	v_cvt_pk_f32_fp8_sdwa v[38:39], v254 src0_sel:WORD_0       // 000000006A90: 7E4CACF9 000406FE
	v_cvt_pk_f32_fp8_sdwa v[40:41], v254 src0_sel:WORD_1       // 000000006A98: 7E50ACF9 000506FE
	v_perm_b32 v252, v39, v38, s52                             // 000000006AA0: D1ED00FC 00D24D27
	v_perm_b32 v253, v41, v40, s52                             // 000000006AA8: D1ED00FD 00D25129
	v_cvt_pk_f32_fp8_sdwa v[38:39], v255 src0_sel:WORD_0       // 000000006AB0: 7E4CACF9 000406FF
	v_cvt_pk_f32_fp8_sdwa v[40:41], v255 src0_sel:WORD_1       // 000000006AB8: 7E50ACF9 000506FF
	v_perm_b32 v254, v39, v38, s52                             // 000000006AC0: D1ED00FE 00D24D27
	v_perm_b32 v255, v41, v40, s52                             // 000000006AC8: D1ED00FF 00D25129
	v_add_f32_e32 v112, v112, v104                             // 000000006AD0: 02E0D170
	v_add_f32_e32 v113, v113, v105                             // 000000006AD4: 02E2D371
	v_add_f32_e32 v114, v114, v106                             // 000000006AD8: 02E4D572
	v_add_f32_e32 v115, v115, v107                             // 000000006ADC: 02E6D773
	s_waitcnt lgkmcnt(7)                                       // 000000006AE0: BF8CC77F
	v_mov_b32_dpp v64, v88 row_shl:8 row_mask:0xf bank_mask:0xf bound_ctrl:1// 000000006AE4: 7E8002FA FF090858
	v_and_b32_e32 v88, v88, v9                                 // 000000006AEC: 26B01358
	v_mov_b32_dpp v65, v89 row_shl:8 row_mask:0xf bank_mask:0xf bound_ctrl:1// 000000006AF0: 7E8202FA FF090859
	v_and_b32_e32 v89, v89, v9                                 // 000000006AF8: 26B21359
	s_waitcnt lgkmcnt(6)                                       // 000000006AFC: BF8CC67F
	v_mov_b32_dpp v66, v90 row_shl:8 row_mask:0xf bank_mask:0xf bound_ctrl:1// 000000006B00: 7E8402FA FF09085A
	v_and_b32_e32 v90, v90, v9                                 // 000000006B08: 26B4135A
	v_mov_b32_dpp v67, v91 row_shl:8 row_mask:0xf bank_mask:0xf bound_ctrl:1// 000000006B0C: 7E8602FA FF09085B
	v_and_b32_e32 v91, v91, v9                                 // 000000006B14: 26B6135B
	s_waitcnt lgkmcnt(5)                                       // 000000006B18: BF8CC57F
	v_mov_b32_dpp v68, v92 row_shl:8 row_mask:0xf bank_mask:0xf bound_ctrl:1// 000000006B1C: 7E8802FA FF09085C
	v_and_b32_e32 v92, v92, v9                                 // 000000006B24: 26B8135C
	v_mov_b32_dpp v69, v93 row_shl:8 row_mask:0xf bank_mask:0xf bound_ctrl:1// 000000006B28: 7E8A02FA FF09085D
	v_and_b32_e32 v93, v93, v9                                 // 000000006B30: 26BA135D
	s_waitcnt lgkmcnt(4)                                       // 000000006B34: BF8CC47F
	v_mov_b32_dpp v70, v94 row_shl:8 row_mask:0xf bank_mask:0xf bound_ctrl:1// 000000006B38: 7E8C02FA FF09085E
	v_and_b32_e32 v94, v94, v9                                 // 000000006B40: 26BC135E
	v_mov_b32_dpp v71, v95 row_shl:8 row_mask:0xf bank_mask:0xf bound_ctrl:1// 000000006B44: 7E8E02FA FF09085F
	v_and_b32_e32 v95, v95, v9                                 // 000000006B4C: 26BE135F
	s_waitcnt lgkmcnt(3)                                       // 000000006B50: BF8CC37F
	v_mov_b32_dpp v72, v96 row_shl:8 row_mask:0xf bank_mask:0xf bound_ctrl:1// 000000006B54: 7E9002FA FF090860
	v_and_b32_e32 v96, v96, v9                                 // 000000006B5C: 26C01360
	v_mov_b32_dpp v73, v97 row_shl:8 row_mask:0xf bank_mask:0xf bound_ctrl:1// 000000006B60: 7E9202FA FF090861
	v_and_b32_e32 v97, v97, v9                                 // 000000006B68: 26C21361
	s_waitcnt lgkmcnt(2)                                       // 000000006B6C: BF8CC27F
	v_mov_b32_dpp v74, v98 row_shl:8 row_mask:0xf bank_mask:0xf bound_ctrl:1// 000000006B70: 7E9402FA FF090862
	v_and_b32_e32 v98, v98, v9                                 // 000000006B78: 26C41362
	v_mov_b32_dpp v75, v99 row_shl:8 row_mask:0xf bank_mask:0xf bound_ctrl:1// 000000006B7C: 7E9602FA FF090863
	v_and_b32_e32 v99, v99, v9                                 // 000000006B84: 26C61363
	s_waitcnt lgkmcnt(1)                                       // 000000006B88: BF8CC17F
	v_mov_b32_dpp v76, v100 row_shl:8 row_mask:0xf bank_mask:0xf bound_ctrl:1// 000000006B8C: 7E9802FA FF090864
	v_and_b32_e32 v100, v100, v9                               // 000000006B94: 26C81364
	v_mov_b32_dpp v77, v101 row_shl:8 row_mask:0xf bank_mask:0xf bound_ctrl:1// 000000006B98: 7E9A02FA FF090865
	v_and_b32_e32 v101, v101, v9                               // 000000006BA0: 26CA1365
	s_waitcnt lgkmcnt(0)                                       // 000000006BA4: BF8CC07F
	v_mov_b32_dpp v78, v102 row_shl:8 row_mask:0xf bank_mask:0xf bound_ctrl:1// 000000006BA8: 7E9C02FA FF090866
	v_and_b32_e32 v102, v102, v9                               // 000000006BB0: 26CC1366
	v_mov_b32_dpp v79, v103 row_shl:8 row_mask:0xf bank_mask:0xf bound_ctrl:1// 000000006BB4: 7E9E02FA FF090867
	v_and_b32_e32 v103, v103, v9                               // 000000006BBC: 26CE1367
	s_waitcnt vmcnt(0)                                         // 000000006BC0: BF8C0F70
	s_barrier                                                  // 000000006BC4: BF8A0000
	v_mfma_f32_16x16x16_bf16 v[104:107], v[160:161], v[88:89], 0// 000000006BC8: D3E10068 0202B1A0
	v_mfma_f32_16x16x16_bf16 v[104:107], v[162:163], v[90:91], v[104:107]// 000000006BD0: D3E10068 05A2B5A2
	v_mfma_f32_16x16x16_bf16 v[104:107], v[164:165], v[92:93], v[104:107]// 000000006BD8: D3E10068 05A2B9A4
	v_mfma_f32_16x16x16_bf16 v[104:107], v[166:167], v[94:95], v[104:107]// 000000006BE0: D3E10068 05A2BDA6
	v_mfma_f32_16x16x16_bf16 v[104:107], v[168:169], v[96:97], v[104:107]// 000000006BE8: D3E10068 05A2C1A8
	v_mfma_f32_16x16x16_bf16 v[104:107], v[170:171], v[98:99], v[104:107]// 000000006BF0: D3E10068 05A2C5AA
	v_mfma_f32_16x16x16_bf16 v[104:107], v[172:173], v[100:101], v[104:107]// 000000006BF8: D3E10068 05A2C9AC
	v_mfma_f32_16x16x16_bf16 v[104:107], v[174:175], v[102:103], v[104:107]// 000000006C00: D3E10068 05A2CDAE
	v_mfma_f32_16x16x16_bf16 v[104:107], v[176:177], v[64:65], v[104:107]// 000000006C08: D3E10068 05A281B0
	v_mfma_f32_16x16x16_bf16 v[104:107], v[178:179], v[66:67], v[104:107]// 000000006C10: D3E10068 05A285B2
	v_mfma_f32_16x16x16_bf16 v[104:107], v[180:181], v[68:69], v[104:107]// 000000006C18: D3E10068 05A289B4
	v_mfma_f32_16x16x16_bf16 v[104:107], v[182:183], v[70:71], v[104:107]// 000000006C20: D3E10068 05A28DB6
	v_mfma_f32_16x16x16_bf16 v[104:107], v[184:185], v[72:73], v[104:107]// 000000006C28: D3E10068 05A291B8
	v_mfma_f32_16x16x16_bf16 v[104:107], v[186:187], v[74:75], v[104:107]// 000000006C30: D3E10068 05A295BA
	v_mfma_f32_16x16x16_bf16 v[104:107], v[188:189], v[76:77], v[104:107]// 000000006C38: D3E10068 05A299BC
	v_mfma_f32_16x16x16_bf16 v[104:107], v[190:191], v[78:79], v[104:107]// 000000006C40: D3E10068 05A29DBE
	v_mfma_f32_16x16x16_bf16 v[108:111], v[224:225], v[88:89], 0// 000000006C48: D3E1006C 0202B1E0
	v_mfma_f32_16x16x16_bf16 v[108:111], v[226:227], v[90:91], v[108:111]// 000000006C50: D3E1006C 05B2B5E2
	v_mfma_f32_16x16x16_bf16 v[108:111], v[228:229], v[92:93], v[108:111]// 000000006C58: D3E1006C 05B2B9E4
	v_mfma_f32_16x16x16_bf16 v[108:111], v[230:231], v[94:95], v[108:111]// 000000006C60: D3E1006C 05B2BDE6
	v_mfma_f32_16x16x16_bf16 v[108:111], v[232:233], v[96:97], v[108:111]// 000000006C68: D3E1006C 05B2C1E8
	v_mfma_f32_16x16x16_bf16 v[108:111], v[234:235], v[98:99], v[108:111]// 000000006C70: D3E1006C 05B2C5EA
	v_mfma_f32_16x16x16_bf16 v[108:111], v[236:237], v[100:101], v[108:111]// 000000006C78: D3E1006C 05B2C9EC
	v_mfma_f32_16x16x16_bf16 v[108:111], v[238:239], v[102:103], v[108:111]// 000000006C80: D3E1006C 05B2CDEE
	v_mfma_f32_16x16x16_bf16 v[108:111], v[240:241], v[64:65], v[108:111]// 000000006C88: D3E1006C 05B281F0
	v_mfma_f32_16x16x16_bf16 v[108:111], v[242:243], v[66:67], v[108:111]// 000000006C90: D3E1006C 05B285F2
	v_mfma_f32_16x16x16_bf16 v[108:111], v[244:245], v[68:69], v[108:111]// 000000006C98: D3E1006C 05B289F4
	v_mfma_f32_16x16x16_bf16 v[108:111], v[246:247], v[70:71], v[108:111]// 000000006CA0: D3E1006C 05B28DF6
	v_mfma_f32_16x16x16_bf16 v[108:111], v[248:249], v[72:73], v[108:111]// 000000006CA8: D3E1006C 05B291F8
	v_mfma_f32_16x16x16_bf16 v[108:111], v[250:251], v[74:75], v[108:111]// 000000006CB0: D3E1006C 05B295FA
	v_mfma_f32_16x16x16_bf16 v[108:111], v[252:253], v[76:77], v[108:111]// 000000006CB8: D3E1006C 05B299FC
	v_mfma_f32_16x16x16_bf16 v[108:111], v[254:255], v[78:79], v[108:111]// 000000006CC0: D3E1006C 05B29DFE
	s_nop 4                                                    // 000000006CC8: BF800004
	s_branch label_12F4                                        // 000000006CCC: BF820000

0000000000006cd0 <label_12F4>:
	v_mul_f32_e32 v112, v49, v112                              // 000000006CD0: 0AE0E131
	v_mul_f32_e32 v113, v49, v113                              // 000000006CD4: 0AE2E331
	v_mul_f32_e32 v114, v49, v114                              // 000000006CD8: 0AE4E531
	v_mul_f32_e32 v115, v49, v115                              // 000000006CDC: 0AE6E731
	v_or_b32_dpp v104, v108, v104 row_shr:8 row_mask:0xf bank_mask:0xf bound_ctrl:1// 000000006CE0: 28D0D0FA FF09186C
	v_or_b32_dpp v105, v109, v105 row_shr:8 row_mask:0xf bank_mask:0xf bound_ctrl:1// 000000006CE8: 28D2D2FA FF09186D
	v_or_b32_dpp v106, v110, v106 row_shr:8 row_mask:0xf bank_mask:0xf bound_ctrl:1// 000000006CF0: 28D4D4FA FF09186E
	v_or_b32_dpp v107, v111, v107 row_shr:8 row_mask:0xf bank_mask:0xf bound_ctrl:1// 000000006CF8: 28D6D6FA FF09186F
	v_add_f32_e32 v112, v112, v104                             // 000000006D00: 02E0D170
	v_add_f32_e32 v113, v113, v105                             // 000000006D04: 02E2D371
	v_add_f32_e32 v114, v114, v106                             // 000000006D08: 02E4D572
	v_add_f32_e32 v115, v115, v107                             // 000000006D0C: 02E6D773
	ds_write_b32 v11, v42 offset:4224                          // 000000006D10: D81A1080 00002A0B
	s_waitcnt lgkmcnt(0)                                       // 000000006D18: BF8CC07F
	s_barrier                                                  // 000000006D1C: BF8A0000
	ds_read_b32 v64, v10 offset:4224                           // 000000006D20: D86C1080 4000000A
	ds_read_b32 v65, v10 offset:4288                           // 000000006D28: D86C10C0 4100000A
	ds_read_b32 v66, v10 offset:4352                           // 000000006D30: D86C1100 4200000A
	ds_read_b32 v67, v10 offset:4416                           // 000000006D38: D86C1140 4300000A
	ds_read_b32 v68, v10 offset:4480                           // 000000006D40: D86C1180 4400000A
	ds_read_b32 v69, v10 offset:4544                           // 000000006D48: D86C11C0 4500000A
	ds_read_b32 v70, v10 offset:4608                           // 000000006D50: D86C1200 4600000A
	ds_read_b32 v71, v10 offset:4672                           // 000000006D58: D86C1240 4700000A
	ds_read_b32 v72, v10 offset:4736                           // 000000006D60: D86C1280 4800000A
	ds_read_b32 v73, v10 offset:4800                           // 000000006D68: D86C12C0 4900000A
	ds_read_b32 v74, v10 offset:4864                           // 000000006D70: D86C1300 4A00000A
	ds_read_b32 v75, v10 offset:4928                           // 000000006D78: D86C1340 4B00000A
	ds_read_b32 v76, v10 offset:4992                           // 000000006D80: D86C1380 4C00000A
	ds_read_b32 v77, v10 offset:5056                           // 000000006D88: D86C13C0 4D00000A
	ds_read_b32 v78, v10 offset:5120                           // 000000006D90: D86C1400 4E00000A
	ds_read_b32 v79, v10 offset:5184                           // 000000006D98: D86C1440 4F00000A
	s_waitcnt lgkmcnt(0)                                       // 000000006DA0: BF8CC07F
	v_mov_b32_e32 v42, 0                                       // 000000006DA4: 7E540280
	v_add_f32_e32 v42, v64, v42                                // 000000006DA8: 02545540
	v_add_f32_e32 v42, v65, v42                                // 000000006DAC: 02545541
	v_add_f32_e32 v42, v66, v42                                // 000000006DB0: 02545542
	v_add_f32_e32 v42, v67, v42                                // 000000006DB4: 02545543
	v_add_f32_e32 v42, v68, v42                                // 000000006DB8: 02545544
	v_add_f32_e32 v42, v69, v42                                // 000000006DBC: 02545545
	v_add_f32_e32 v42, v70, v42                                // 000000006DC0: 02545546
	v_add_f32_e32 v42, v71, v42                                // 000000006DC4: 02545547
	v_add_f32_e32 v42, v72, v42                                // 000000006DC8: 02545548
	v_add_f32_e32 v42, v73, v42                                // 000000006DCC: 02545549
	v_add_f32_e32 v42, v74, v42                                // 000000006DD0: 0254554A
	v_add_f32_e32 v42, v75, v42                                // 000000006DD4: 0254554B
	v_add_f32_e32 v42, v76, v42                                // 000000006DD8: 0254554C
	v_add_f32_e32 v42, v77, v42                                // 000000006DDC: 0254554D
	v_add_f32_e32 v42, v78, v42                                // 000000006DE0: 0254554E
	v_add_f32_e32 v42, v79, v42                                // 000000006DE4: 0254554F
	s_nop 1                                                    // 000000006DE8: BF800001
	v_mov_b32_dpp v38, v42 row_ror:8 row_mask:0xf bank_mask:0xf// 000000006DEC: 7E4C02FA FF01282A
	v_add_f32_e32 v42, v42, v38                                // 000000006DF4: 02544D2A
	v_rcp_f32_e32 v42, v42                                     // 000000006DF8: 7E54452A
	s_nop 1                                                    // 000000006DFC: BF800001
	v_mul_f32_e32 v112, v42, v112                              // 000000006E00: 0AE0E12A
	v_mul_f32_e32 v113, v42, v113                              // 000000006E04: 0AE2E32A
	v_mul_f32_e32 v114, v42, v114                              // 000000006E08: 0AE4E52A
	v_mul_f32_e32 v115, v42, v115                              // 000000006E0C: 0AE6E72A
	v_cmp_u_f32_e64 s[40:41], v112, v112                       // 000000006E10: D0480028 0002E170
	v_add3_u32 v18, v112, v21, 1                               // 000000006E18: D1FF0012 02062B70
	v_cndmask_b32_e64 v38, v18, v20, s[40:41]                  // 000000006E20: D1000026 00A22912
	v_cmp_u_f32_e64 s[40:41], v113, v113                       // 000000006E28: D0480028 0002E371
	v_add3_u32 v18, v113, v21, 1                               // 000000006E30: D1FF0012 02062B71
	v_cndmask_b32_e64 v39, v18, v20, s[40:41]                  // 000000006E38: D1000027 00A22912
	v_perm_b32 v112, v39, v38, s52                             // 000000006E40: D1ED0070 00D24D27
	v_cmp_u_f32_e64 s[40:41], v114, v114                       // 000000006E48: D0480028 0002E572
	v_add3_u32 v18, v114, v21, 1                               // 000000006E50: D1FF0012 02062B72
	v_cndmask_b32_e64 v38, v18, v20, s[40:41]                  // 000000006E58: D1000026 00A22912
	v_cmp_u_f32_e64 s[40:41], v115, v115                       // 000000006E60: D0480028 0002E773
	v_add3_u32 v18, v115, v21, 1                               // 000000006E68: D1FF0012 02062B73
	v_cndmask_b32_e64 v39, v18, v20, s[40:41]                  // 000000006E70: D1000027 00A22912
	v_perm_b32 v113, v39, v38, s52                             // 000000006E78: D1ED0071 00D24D27
	s_nop 1                                                    // 000000006E80: BF800001
	v_mov_b32_dpp v114, v112 row_shl:8 row_mask:0xf bank_mask:0xf bound_ctrl:1// 000000006E84: 7EE402FA FF090870
	v_and_b32_e32 v112, v112, v9                               // 000000006E8C: 26E01370
	v_mov_b32_dpp v115, v113 row_shl:8 row_mask:0xf bank_mask:0xf bound_ctrl:1// 000000006E90: 7EE602FA FF090871
	v_and_b32_e32 v113, v113, v9                               // 000000006E98: 26E21371
	v_lshrrev_b32_e32 v38, 4, v0                               // 000000006E9C: 204C0084
	v_mul_i32_i24_e32 v5, 34, v38                              // 000000006EA0: 0C0A4CA2
	v_and_b32_e32 v38, 15, v0                                  // 000000006EA4: 264C008F
	v_mul_i32_i24_e32 v39, 2, v38                              // 000000006EA8: 0C4E4C82
	v_add_u32_e32 v5, v39, v5                                  // 000000006EAC: 680A0B27
	s_mul_i32 s60, s7, 0x88                                    // 000000006EB0: 923CFF07 00000088
	v_add_u32_e32 v5, s60, v5                                  // 000000006EB8: 680A0A3C
	v_lshlrev_b32_e32 v5, 2, v5                                // 000000006EBC: 240A0A82
	ds_write_b64 v5, v[112:113] offset:14464                   // 000000006EC0: D89A3880 00007005
	ds_write_b64 v5, v[114:115] offset:16640                   // 000000006EC8: D89A4100 00007205
	v_lshrrev_b32_e32 v38, 1, v0                               // 000000006ED0: 204C0081
	v_mul_i32_i24_e32 v5, 34, v38                              // 000000006ED4: 0C0A4CA2
	v_and_b32_e32 v39, 1, v0                                   // 000000006ED8: 264E0081
	v_add_u32_e32 v5, v39, v5                                  // 000000006EDC: 680A0B27
	s_mul_i32 s60, s7, 2                                       // 000000006EE0: 923C8207
	v_add_u32_e32 v5, s60, v5                                  // 000000006EE4: 680A0A3C
	v_lshlrev_b32_e32 v5, 2, v5                                // 000000006EE8: 240A0A82
	s_waitcnt lgkmcnt(0)                                       // 000000006EEC: BF8CC07F
	s_barrier                                                  // 000000006EF0: BF8A0000
	ds_read_b32 v112, v5 offset:14464                          // 000000006EF4: D86C3880 70000005
	ds_read_b32 v113, v5 offset:14496                          // 000000006EFC: D86C38A0 71000005
	s_waitcnt lgkmcnt(0)                                       // 000000006F04: BF8CC07F
	buffer_store_dword v112, v8, s[8:11], 0 offen              // 000000006F08: E0701000 80027008
	buffer_store_dword v113, v8, s[8:11], 0 offen offset:1024  // 000000006F10: E0701400 80027108
	s_waitcnt vmcnt(0) expcnt(0) lgkmcnt(0)                    // 000000006F18: BF8C0000
	s_endpgm                                                   // 000000006F1C: BF810000
